;; amdgpu-corpus repo=ROCm/rocFFT kind=compiled arch=gfx1100 opt=O3
	.text
	.amdgcn_target "amdgcn-amd-amdhsa--gfx1100"
	.amdhsa_code_object_version 6
	.protected	fft_rtc_fwd_len1008_factors_2_2_2_2_3_3_7_wgs_56_tpt_56_halfLds_sp_op_CI_CI_unitstride_sbrr_R2C_dirReg ; -- Begin function fft_rtc_fwd_len1008_factors_2_2_2_2_3_3_7_wgs_56_tpt_56_halfLds_sp_op_CI_CI_unitstride_sbrr_R2C_dirReg
	.globl	fft_rtc_fwd_len1008_factors_2_2_2_2_3_3_7_wgs_56_tpt_56_halfLds_sp_op_CI_CI_unitstride_sbrr_R2C_dirReg
	.p2align	8
	.type	fft_rtc_fwd_len1008_factors_2_2_2_2_3_3_7_wgs_56_tpt_56_halfLds_sp_op_CI_CI_unitstride_sbrr_R2C_dirReg,@function
fft_rtc_fwd_len1008_factors_2_2_2_2_3_3_7_wgs_56_tpt_56_halfLds_sp_op_CI_CI_unitstride_sbrr_R2C_dirReg: ; @fft_rtc_fwd_len1008_factors_2_2_2_2_3_3_7_wgs_56_tpt_56_halfLds_sp_op_CI_CI_unitstride_sbrr_R2C_dirReg
; %bb.0:
	s_clause 0x2
	s_load_b128 s[8:11], s[0:1], 0x0
	s_load_b128 s[4:7], s[0:1], 0x58
	;; [unrolled: 1-line block ×3, first 2 shown]
	v_mul_u32_u24_e32 v1, 0x493, v0
	v_mov_b32_e32 v3, 0
	s_delay_alu instid0(VALU_DEP_2) | instskip(NEXT) | instid1(VALU_DEP_1)
	v_lshrrev_b32_e32 v1, 16, v1
	v_add_nc_u32_e32 v5, s15, v1
	v_mov_b32_e32 v1, 0
	v_mov_b32_e32 v2, 0
	;; [unrolled: 1-line block ×3, first 2 shown]
	s_waitcnt lgkmcnt(0)
	v_cmp_lt_u64_e64 s2, s[10:11], 2
	s_delay_alu instid0(VALU_DEP_1)
	s_and_b32 vcc_lo, exec_lo, s2
	s_cbranch_vccnz .LBB0_8
; %bb.1:
	s_load_b64 s[2:3], s[0:1], 0x10
	v_mov_b32_e32 v1, 0
	v_mov_b32_e32 v2, 0
	s_add_u32 s12, s18, 8
	s_addc_u32 s13, s19, 0
	s_add_u32 s14, s16, 8
	s_addc_u32 s15, s17, 0
	v_dual_mov_b32 v37, v2 :: v_dual_mov_b32 v36, v1
	s_mov_b64 s[22:23], 1
	s_waitcnt lgkmcnt(0)
	s_add_u32 s20, s2, 8
	s_addc_u32 s21, s3, 0
.LBB0_2:                                ; =>This Inner Loop Header: Depth=1
	s_load_b64 s[24:25], s[20:21], 0x0
                                        ; implicit-def: $vgpr42_vgpr43
	s_mov_b32 s2, exec_lo
	s_waitcnt lgkmcnt(0)
	v_or_b32_e32 v4, s25, v6
	s_delay_alu instid0(VALU_DEP_1)
	v_cmpx_ne_u64_e32 0, v[3:4]
	s_xor_b32 s3, exec_lo, s2
	s_cbranch_execz .LBB0_4
; %bb.3:                                ;   in Loop: Header=BB0_2 Depth=1
	v_cvt_f32_u32_e32 v4, s24
	v_cvt_f32_u32_e32 v7, s25
	s_sub_u32 s2, 0, s24
	s_subb_u32 s26, 0, s25
	s_delay_alu instid0(VALU_DEP_1) | instskip(NEXT) | instid1(VALU_DEP_1)
	v_fmac_f32_e32 v4, 0x4f800000, v7
	v_rcp_f32_e32 v4, v4
	s_waitcnt_depctr 0xfff
	v_mul_f32_e32 v4, 0x5f7ffffc, v4
	s_delay_alu instid0(VALU_DEP_1) | instskip(NEXT) | instid1(VALU_DEP_1)
	v_mul_f32_e32 v7, 0x2f800000, v4
	v_trunc_f32_e32 v7, v7
	s_delay_alu instid0(VALU_DEP_1) | instskip(SKIP_1) | instid1(VALU_DEP_2)
	v_fmac_f32_e32 v4, 0xcf800000, v7
	v_cvt_u32_f32_e32 v7, v7
	v_cvt_u32_f32_e32 v4, v4
	s_delay_alu instid0(VALU_DEP_2) | instskip(NEXT) | instid1(VALU_DEP_2)
	v_mul_lo_u32 v8, s2, v7
	v_mul_hi_u32 v9, s2, v4
	v_mul_lo_u32 v10, s26, v4
	s_delay_alu instid0(VALU_DEP_2) | instskip(SKIP_1) | instid1(VALU_DEP_2)
	v_add_nc_u32_e32 v8, v9, v8
	v_mul_lo_u32 v9, s2, v4
	v_add_nc_u32_e32 v8, v8, v10
	s_delay_alu instid0(VALU_DEP_2) | instskip(NEXT) | instid1(VALU_DEP_2)
	v_mul_hi_u32 v10, v4, v9
	v_mul_lo_u32 v11, v4, v8
	v_mul_hi_u32 v12, v4, v8
	v_mul_hi_u32 v13, v7, v9
	v_mul_lo_u32 v9, v7, v9
	v_mul_hi_u32 v14, v7, v8
	v_mul_lo_u32 v8, v7, v8
	v_add_co_u32 v10, vcc_lo, v10, v11
	v_add_co_ci_u32_e32 v11, vcc_lo, 0, v12, vcc_lo
	s_delay_alu instid0(VALU_DEP_2) | instskip(NEXT) | instid1(VALU_DEP_2)
	v_add_co_u32 v9, vcc_lo, v10, v9
	v_add_co_ci_u32_e32 v9, vcc_lo, v11, v13, vcc_lo
	v_add_co_ci_u32_e32 v10, vcc_lo, 0, v14, vcc_lo
	s_delay_alu instid0(VALU_DEP_2) | instskip(NEXT) | instid1(VALU_DEP_2)
	v_add_co_u32 v8, vcc_lo, v9, v8
	v_add_co_ci_u32_e32 v9, vcc_lo, 0, v10, vcc_lo
	s_delay_alu instid0(VALU_DEP_2) | instskip(NEXT) | instid1(VALU_DEP_2)
	v_add_co_u32 v4, vcc_lo, v4, v8
	v_add_co_ci_u32_e32 v7, vcc_lo, v7, v9, vcc_lo
	s_delay_alu instid0(VALU_DEP_2) | instskip(SKIP_1) | instid1(VALU_DEP_3)
	v_mul_hi_u32 v8, s2, v4
	v_mul_lo_u32 v10, s26, v4
	v_mul_lo_u32 v9, s2, v7
	s_delay_alu instid0(VALU_DEP_1) | instskip(SKIP_1) | instid1(VALU_DEP_2)
	v_add_nc_u32_e32 v8, v8, v9
	v_mul_lo_u32 v9, s2, v4
	v_add_nc_u32_e32 v8, v8, v10
	s_delay_alu instid0(VALU_DEP_2) | instskip(NEXT) | instid1(VALU_DEP_2)
	v_mul_hi_u32 v10, v4, v9
	v_mul_lo_u32 v11, v4, v8
	v_mul_hi_u32 v12, v4, v8
	v_mul_hi_u32 v13, v7, v9
	v_mul_lo_u32 v9, v7, v9
	v_mul_hi_u32 v14, v7, v8
	v_mul_lo_u32 v8, v7, v8
	v_add_co_u32 v10, vcc_lo, v10, v11
	v_add_co_ci_u32_e32 v11, vcc_lo, 0, v12, vcc_lo
	s_delay_alu instid0(VALU_DEP_2) | instskip(NEXT) | instid1(VALU_DEP_2)
	v_add_co_u32 v9, vcc_lo, v10, v9
	v_add_co_ci_u32_e32 v9, vcc_lo, v11, v13, vcc_lo
	v_add_co_ci_u32_e32 v10, vcc_lo, 0, v14, vcc_lo
	s_delay_alu instid0(VALU_DEP_2) | instskip(NEXT) | instid1(VALU_DEP_2)
	v_add_co_u32 v8, vcc_lo, v9, v8
	v_add_co_ci_u32_e32 v9, vcc_lo, 0, v10, vcc_lo
	s_delay_alu instid0(VALU_DEP_2) | instskip(NEXT) | instid1(VALU_DEP_2)
	v_add_co_u32 v4, vcc_lo, v4, v8
	v_add_co_ci_u32_e32 v13, vcc_lo, v7, v9, vcc_lo
	s_delay_alu instid0(VALU_DEP_2) | instskip(SKIP_1) | instid1(VALU_DEP_3)
	v_mul_hi_u32 v14, v5, v4
	v_mad_u64_u32 v[9:10], null, v6, v4, 0
	v_mad_u64_u32 v[7:8], null, v5, v13, 0
	;; [unrolled: 1-line block ×3, first 2 shown]
	s_delay_alu instid0(VALU_DEP_2) | instskip(NEXT) | instid1(VALU_DEP_3)
	v_add_co_u32 v4, vcc_lo, v14, v7
	v_add_co_ci_u32_e32 v7, vcc_lo, 0, v8, vcc_lo
	s_delay_alu instid0(VALU_DEP_2) | instskip(NEXT) | instid1(VALU_DEP_2)
	v_add_co_u32 v4, vcc_lo, v4, v9
	v_add_co_ci_u32_e32 v4, vcc_lo, v7, v10, vcc_lo
	v_add_co_ci_u32_e32 v7, vcc_lo, 0, v12, vcc_lo
	s_delay_alu instid0(VALU_DEP_2) | instskip(NEXT) | instid1(VALU_DEP_2)
	v_add_co_u32 v4, vcc_lo, v4, v11
	v_add_co_ci_u32_e32 v9, vcc_lo, 0, v7, vcc_lo
	s_delay_alu instid0(VALU_DEP_2) | instskip(SKIP_1) | instid1(VALU_DEP_3)
	v_mul_lo_u32 v10, s25, v4
	v_mad_u64_u32 v[7:8], null, s24, v4, 0
	v_mul_lo_u32 v11, s24, v9
	s_delay_alu instid0(VALU_DEP_2) | instskip(NEXT) | instid1(VALU_DEP_2)
	v_sub_co_u32 v7, vcc_lo, v5, v7
	v_add3_u32 v8, v8, v11, v10
	s_delay_alu instid0(VALU_DEP_1) | instskip(NEXT) | instid1(VALU_DEP_1)
	v_sub_nc_u32_e32 v10, v6, v8
	v_subrev_co_ci_u32_e64 v10, s2, s25, v10, vcc_lo
	v_add_co_u32 v11, s2, v4, 2
	s_delay_alu instid0(VALU_DEP_1) | instskip(SKIP_3) | instid1(VALU_DEP_3)
	v_add_co_ci_u32_e64 v12, s2, 0, v9, s2
	v_sub_co_u32 v13, s2, v7, s24
	v_sub_co_ci_u32_e32 v8, vcc_lo, v6, v8, vcc_lo
	v_subrev_co_ci_u32_e64 v10, s2, 0, v10, s2
	v_cmp_le_u32_e32 vcc_lo, s24, v13
	s_delay_alu instid0(VALU_DEP_3) | instskip(SKIP_1) | instid1(VALU_DEP_4)
	v_cmp_eq_u32_e64 s2, s25, v8
	v_cndmask_b32_e64 v13, 0, -1, vcc_lo
	v_cmp_le_u32_e32 vcc_lo, s25, v10
	v_cndmask_b32_e64 v14, 0, -1, vcc_lo
	v_cmp_le_u32_e32 vcc_lo, s24, v7
	;; [unrolled: 2-line block ×3, first 2 shown]
	v_cndmask_b32_e64 v15, 0, -1, vcc_lo
	v_cmp_eq_u32_e32 vcc_lo, s25, v10
	s_delay_alu instid0(VALU_DEP_2) | instskip(SKIP_3) | instid1(VALU_DEP_3)
	v_cndmask_b32_e64 v7, v15, v7, s2
	v_cndmask_b32_e32 v10, v14, v13, vcc_lo
	v_add_co_u32 v13, vcc_lo, v4, 1
	v_add_co_ci_u32_e32 v14, vcc_lo, 0, v9, vcc_lo
	v_cmp_ne_u32_e32 vcc_lo, 0, v10
	s_delay_alu instid0(VALU_DEP_2) | instskip(NEXT) | instid1(VALU_DEP_4)
	v_cndmask_b32_e32 v8, v14, v12, vcc_lo
	v_cndmask_b32_e32 v10, v13, v11, vcc_lo
	v_cmp_ne_u32_e32 vcc_lo, 0, v7
	s_delay_alu instid0(VALU_DEP_2)
	v_dual_cndmask_b32 v43, v9, v8 :: v_dual_cndmask_b32 v42, v4, v10
.LBB0_4:                                ;   in Loop: Header=BB0_2 Depth=1
	s_and_not1_saveexec_b32 s2, s3
	s_cbranch_execz .LBB0_6
; %bb.5:                                ;   in Loop: Header=BB0_2 Depth=1
	v_cvt_f32_u32_e32 v4, s24
	s_sub_i32 s3, 0, s24
	v_mov_b32_e32 v43, v3
	s_delay_alu instid0(VALU_DEP_2) | instskip(SKIP_2) | instid1(VALU_DEP_1)
	v_rcp_iflag_f32_e32 v4, v4
	s_waitcnt_depctr 0xfff
	v_mul_f32_e32 v4, 0x4f7ffffe, v4
	v_cvt_u32_f32_e32 v4, v4
	s_delay_alu instid0(VALU_DEP_1) | instskip(NEXT) | instid1(VALU_DEP_1)
	v_mul_lo_u32 v7, s3, v4
	v_mul_hi_u32 v7, v4, v7
	s_delay_alu instid0(VALU_DEP_1) | instskip(NEXT) | instid1(VALU_DEP_1)
	v_add_nc_u32_e32 v4, v4, v7
	v_mul_hi_u32 v4, v5, v4
	s_delay_alu instid0(VALU_DEP_1) | instskip(SKIP_1) | instid1(VALU_DEP_2)
	v_mul_lo_u32 v7, v4, s24
	v_add_nc_u32_e32 v8, 1, v4
	v_sub_nc_u32_e32 v7, v5, v7
	s_delay_alu instid0(VALU_DEP_1) | instskip(SKIP_1) | instid1(VALU_DEP_2)
	v_subrev_nc_u32_e32 v9, s24, v7
	v_cmp_le_u32_e32 vcc_lo, s24, v7
	v_dual_cndmask_b32 v7, v7, v9 :: v_dual_cndmask_b32 v4, v4, v8
	s_delay_alu instid0(VALU_DEP_1) | instskip(NEXT) | instid1(VALU_DEP_2)
	v_cmp_le_u32_e32 vcc_lo, s24, v7
	v_add_nc_u32_e32 v8, 1, v4
	s_delay_alu instid0(VALU_DEP_1)
	v_cndmask_b32_e32 v42, v4, v8, vcc_lo
.LBB0_6:                                ;   in Loop: Header=BB0_2 Depth=1
	s_or_b32 exec_lo, exec_lo, s2
	s_delay_alu instid0(VALU_DEP_1) | instskip(NEXT) | instid1(VALU_DEP_2)
	v_mul_lo_u32 v4, v43, s24
	v_mul_lo_u32 v9, v42, s25
	s_load_b64 s[2:3], s[14:15], 0x0
	v_mad_u64_u32 v[7:8], null, v42, s24, 0
	s_load_b64 s[24:25], s[12:13], 0x0
	s_add_u32 s22, s22, 1
	s_addc_u32 s23, s23, 0
	s_add_u32 s12, s12, 8
	s_addc_u32 s13, s13, 0
	s_add_u32 s14, s14, 8
	s_delay_alu instid0(VALU_DEP_1) | instskip(SKIP_3) | instid1(VALU_DEP_2)
	v_add3_u32 v4, v8, v9, v4
	v_sub_co_u32 v8, vcc_lo, v5, v7
	s_addc_u32 s15, s15, 0
	s_add_u32 s20, s20, 8
	v_sub_co_ci_u32_e32 v6, vcc_lo, v6, v4, vcc_lo
	s_addc_u32 s21, s21, 0
	s_waitcnt lgkmcnt(0)
	s_delay_alu instid0(VALU_DEP_1)
	v_mul_lo_u32 v9, s2, v6
	v_mul_lo_u32 v10, s3, v8
	v_mad_u64_u32 v[4:5], null, s2, v8, v[1:2]
	v_mul_lo_u32 v11, s24, v6
	v_mul_lo_u32 v12, s25, v8
	v_mad_u64_u32 v[6:7], null, s24, v8, v[36:37]
	v_cmp_ge_u64_e64 s2, s[22:23], s[10:11]
	v_add3_u32 v2, v10, v5, v9
	s_delay_alu instid0(VALU_DEP_3) | instskip(NEXT) | instid1(VALU_DEP_4)
	v_dual_mov_b32 v1, v4 :: v_dual_mov_b32 v36, v6
	v_add3_u32 v37, v12, v7, v11
	s_delay_alu instid0(VALU_DEP_4)
	s_and_b32 vcc_lo, exec_lo, s2
	s_cbranch_vccnz .LBB0_9
; %bb.7:                                ;   in Loop: Header=BB0_2 Depth=1
	v_dual_mov_b32 v5, v42 :: v_dual_mov_b32 v6, v43
	s_branch .LBB0_2
.LBB0_8:
	v_dual_mov_b32 v37, v2 :: v_dual_mov_b32 v36, v1
	v_dual_mov_b32 v43, v6 :: v_dual_mov_b32 v42, v5
.LBB0_9:
	s_load_b64 s[0:1], s[0:1], 0x28
	v_mul_hi_u32 v3, 0x4924925, v0
	s_lshl_b64 s[10:11], s[10:11], 3
                                        ; implicit-def: $vgpr38
                                        ; implicit-def: $vgpr40
                                        ; implicit-def: $vgpr50
                                        ; implicit-def: $vgpr49
                                        ; implicit-def: $vgpr48
                                        ; implicit-def: $vgpr47
                                        ; implicit-def: $vgpr46
                                        ; implicit-def: $vgpr45
                                        ; implicit-def: $vgpr44
	s_delay_alu instid0(SALU_CYCLE_1) | instskip(SKIP_4) | instid1(VALU_DEP_1)
	s_add_u32 s2, s18, s10
	s_addc_u32 s3, s19, s11
	s_waitcnt lgkmcnt(0)
	v_cmp_gt_u64_e32 vcc_lo, s[0:1], v[42:43]
	v_cmp_le_u64_e64 s0, s[0:1], v[42:43]
	s_and_saveexec_b32 s1, s0
	s_delay_alu instid0(SALU_CYCLE_1)
	s_xor_b32 s0, exec_lo, s1
; %bb.10:
	v_mul_u32_u24_e32 v1, 56, v3
                                        ; implicit-def: $vgpr3
	s_delay_alu instid0(VALU_DEP_1) | instskip(NEXT) | instid1(VALU_DEP_1)
	v_sub_nc_u32_e32 v38, v0, v1
                                        ; implicit-def: $vgpr0
                                        ; implicit-def: $vgpr1_vgpr2
	v_add_nc_u32_e32 v40, 56, v38
	v_add_nc_u32_e32 v50, 0x70, v38
	;; [unrolled: 1-line block ×7, first 2 shown]
	v_or_b32_e32 v44, 0x1c0, v38
; %bb.11:
	s_and_not1_saveexec_b32 s1, s0
	s_cbranch_execz .LBB0_13
; %bb.12:
	s_add_u32 s10, s16, s10
	s_addc_u32 s11, s17, s11
	v_lshlrev_b64 v[1:2], 3, v[1:2]
	s_load_b64 s[10:11], s[10:11], 0x0
	s_waitcnt lgkmcnt(0)
	v_mul_lo_u32 v6, s11, v42
	v_mul_lo_u32 v7, s10, v43
	v_mad_u64_u32 v[4:5], null, s10, v42, 0
	s_delay_alu instid0(VALU_DEP_1) | instskip(SKIP_1) | instid1(VALU_DEP_2)
	v_add3_u32 v5, v5, v7, v6
	v_mul_u32_u24_e32 v6, 56, v3
	v_lshlrev_b64 v[3:4], 3, v[4:5]
	s_delay_alu instid0(VALU_DEP_2) | instskip(NEXT) | instid1(VALU_DEP_1)
	v_sub_nc_u32_e32 v38, v0, v6
	v_lshlrev_b32_e32 v39, 3, v38
	s_delay_alu instid0(VALU_DEP_3) | instskip(NEXT) | instid1(VALU_DEP_1)
	v_add_co_u32 v0, s0, s4, v3
	v_add_co_ci_u32_e64 v3, s0, s5, v4, s0
	v_add_nc_u32_e32 v40, 56, v38
	s_delay_alu instid0(VALU_DEP_3) | instskip(NEXT) | instid1(VALU_DEP_1)
	v_add_co_u32 v4, s0, v0, v1
	v_add_co_ci_u32_e64 v3, s0, v3, v2, s0
	v_or_b32_e32 v2, 0x1c00, v39
	s_delay_alu instid0(VALU_DEP_3) | instskip(NEXT) | instid1(VALU_DEP_1)
	v_add_co_u32 v0, s0, v4, v39
	v_add_co_ci_u32_e64 v1, s0, 0, v3, s0
	s_delay_alu instid0(VALU_DEP_3) | instskip(NEXT) | instid1(VALU_DEP_1)
	v_add_co_u32 v2, s0, v4, v2
	v_add_co_ci_u32_e64 v3, s0, 0, v3, s0
	s_delay_alu instid0(VALU_DEP_4) | instskip(NEXT) | instid1(VALU_DEP_1)
	v_add_co_u32 v12, s0, 0x1000, v0
	v_add_co_ci_u32_e64 v13, s0, 0, v1, s0
	s_clause 0x11
	global_load_b64 v[4:5], v[0:1], off
	global_load_b64 v[6:7], v[0:1], off offset:448
	global_load_b64 v[8:9], v[0:1], off offset:896
	;; [unrolled: 1-line block ×15, first 2 shown]
	global_load_b64 v[2:3], v[2:3], off
	global_load_b64 v[12:13], v[12:13], off offset:3520
	v_add_nc_u32_e32 v39, 0, v39
	v_add_nc_u32_e32 v50, 0x70, v38
	;; [unrolled: 1-line block ×7, first 2 shown]
	v_or_b32_e32 v44, 0x1c0, v38
	v_add_nc_u32_e32 v41, 0x400, v39
	v_add_nc_u32_e32 v51, 0x800, v39
	v_add_nc_u32_e32 v52, 0x1000, v39
	v_add_nc_u32_e32 v53, 0x1800, v39
	s_waitcnt vmcnt(16)
	ds_store_2addr_b64 v39, v[4:5], v[6:7] offset1:56
	s_waitcnt vmcnt(14)
	ds_store_2addr_b64 v39, v[8:9], v[10:11] offset0:112 offset1:168
	s_waitcnt vmcnt(12)
	ds_store_2addr_b64 v41, v[14:15], v[16:17] offset0:96 offset1:152
	;; [unrolled: 2-line block ×8, first 2 shown]
.LBB0_13:
	s_or_b32 exec_lo, exec_lo, s1
	v_lshlrev_b32_e32 v39, 3, v38
	s_load_b64 s[2:3], s[2:3], 0x0
	s_waitcnt lgkmcnt(0)
	s_barrier
	buffer_gl0_inv
	v_add_nc_u32_e32 v61, 0, v39
	v_lshl_add_u32 v41, v40, 4, 0
	v_lshl_add_u32 v75, v50, 4, 0
	v_lshl_add_u32 v65, v49, 4, 0
	v_lshl_add_u32 v64, v48, 4, 0
	v_add_nc_u32_e32 v72, 0x800, v61
	v_add_nc_u32_e32 v73, 0x1000, v61
	v_lshl_add_u32 v62, v47, 4, 0
	v_lshl_add_u32 v63, v44, 4, 0
	ds_load_2addr_b64 v[0:3], v61 offset1:56
	ds_load_2addr_b64 v[4:7], v72 offset0:192 offset1:248
	ds_load_2addr_b64 v[8:11], v73 offset0:48 offset1:104
	v_lshl_add_u32 v60, v46, 4, 0
	v_lshl_add_u32 v59, v45, 4, 0
	;; [unrolled: 1-line block ×3, first 2 shown]
	v_cmp_gt_u32_e64 s0, 48, v38
	s_waitcnt lgkmcnt(1)
	v_sub_f32_e32 v6, v0, v6
	ds_load_2addr_b64 v[12:15], v61 offset0:112 offset1:168
	v_add_nc_u32_e32 v16, 0x400, v61
	v_dual_sub_f32 v7, v1, v7 :: v_dual_add_nc_u32 v74, 0x1800, v61
	s_waitcnt lgkmcnt(1)
	v_sub_f32_e32 v8, v2, v8
	v_fma_f32 v0, v0, 2.0, -v6
	v_add_nc_u32_e32 v35, v61, v39
	v_fma_f32 v1, v1, 2.0, -v7
	s_delay_alu instid0(VALU_DEP_4)
	v_fma_f32 v2, v2, 2.0, -v8
	s_waitcnt lgkmcnt(0)
	v_dual_sub_f32 v10, v12, v10 :: v_dual_sub_f32 v11, v13, v11
	ds_load_2addr_b64 v[17:20], v73 offset0:160 offset1:216
	ds_load_2addr_b64 v[21:24], v16 offset0:96 offset1:152
	;; [unrolled: 1-line block ×5, first 2 shown]
	v_sub_f32_e32 v9, v3, v9
	s_waitcnt lgkmcnt(0)
	v_fma_f32 v12, v12, 2.0, -v10
	v_fma_f32 v13, v13, 2.0, -v11
	s_barrier
	buffer_gl0_inv
	v_dual_sub_f32 v17, v14, v17 :: v_dual_sub_f32 v18, v15, v18
	v_dual_sub_f32 v19, v21, v19 :: v_dual_sub_f32 v20, v22, v20
	v_fma_f32 v3, v3, 2.0, -v9
	s_delay_alu instid0(VALU_DEP_3) | instskip(NEXT) | instid1(VALU_DEP_4)
	v_fma_f32 v14, v14, 2.0, -v17
	v_fma_f32 v15, v15, 2.0, -v18
	s_delay_alu instid0(VALU_DEP_4)
	v_fma_f32 v21, v21, 2.0, -v19
	v_fma_f32 v22, v22, 2.0, -v20
	v_dual_sub_f32 v25, v23, v25 :: v_dual_sub_f32 v26, v24, v26
	v_dual_sub_f32 v33, v31, v51 :: v_dual_sub_f32 v34, v32, v52
	;; [unrolled: 1-line block ×3, first 2 shown]
	ds_store_2addr_b64 v35, v[0:1], v[6:7] offset1:1
	ds_store_2addr_b64 v41, v[2:3], v[8:9] offset1:1
	;; [unrolled: 1-line block ×5, first 2 shown]
	v_and_b32_e32 v11, 1, v38
	v_dual_sub_f32 v27, v29, v27 :: v_dual_sub_f32 v28, v30, v28
	v_fma_f32 v23, v23, 2.0, -v25
	v_fma_f32 v24, v24, 2.0, -v26
	;; [unrolled: 1-line block ×4, first 2 shown]
	v_lshlrev_b32_e32 v0, 3, v11
	v_fma_f32 v29, v29, 2.0, -v27
	v_fma_f32 v30, v30, 2.0, -v28
	;; [unrolled: 1-line block ×4, first 2 shown]
	ds_store_2addr_b64 v62, v[23:24], v[25:26] offset1:1
	ds_store_2addr_b64 v60, v[29:30], v[27:28] offset1:1
	;; [unrolled: 1-line block ×4, first 2 shown]
	s_waitcnt lgkmcnt(0)
	s_barrier
	buffer_gl0_inv
	global_load_b64 v[33:34], v0, s[8:9]
	v_lshlrev_b32_e32 v0, 1, v38
	v_lshlrev_b32_e32 v1, 1, v40
	;; [unrolled: 1-line block ×9, first 2 shown]
	v_and_or_b32 v12, 0x7c, v0, v11
	v_and_or_b32 v13, 0xfc, v1, v11
	;; [unrolled: 1-line block ×3, first 2 shown]
	v_add_nc_u32_e32 v24, 0xc00, v61
	v_and_or_b32 v23, 0x1fc, v3, v11
	v_and_or_b32 v25, 0x3fc, v4, v11
	;; [unrolled: 1-line block ×6, first 2 shown]
	v_lshl_add_u32 v93, v12, 3, 0
	v_lshl_add_u32 v94, v13, 3, 0
	;; [unrolled: 1-line block ×3, first 2 shown]
	ds_load_2addr_b64 v[11:14], v24 offset0:120 offset1:176
	v_lshlrev_b32_e32 v76, 3, v50
	v_lshlrev_b32_e32 v67, 3, v48
	;; [unrolled: 1-line block ×5, first 2 shown]
	v_sub_nc_u32_e32 v21, v75, v76
	v_sub_nc_u32_e32 v17, v64, v67
	v_lshl_add_u32 v96, v25, 3, 0
	v_sub_nc_u32_e32 v20, v60, v69
	v_sub_nc_u32_e32 v9, v59, v70
	v_lshl_add_u32 v97, v26, 3, 0
	v_lshl_add_u32 v98, v27, 3, 0
	;; [unrolled: 1-line block ×5, first 2 shown]
	s_waitcnt vmcnt(0) lgkmcnt(0)
	v_mul_f32_e32 v101, v34, v12
	v_dual_mul_f32 v102, v34, v11 :: v_dual_lshlrev_b32 v41, 3, v49
	v_dual_mul_f32 v104, v34, v13 :: v_dual_lshlrev_b32 v71, 3, v44
	s_delay_alu instid0(VALU_DEP_3)
	v_fma_f32 v11, v33, v11, -v101
	v_dual_mul_f32 v103, v34, v14 :: v_dual_add_nc_u32 v22, 0x1400, v61
	v_sub_nc_u32_e32 v19, v62, v68
	v_fmac_f32_e32 v102, v33, v12
	v_sub_nc_u32_e32 v18, v65, v41
	v_fmac_f32_e32 v104, v33, v14
	v_sub_nc_u32_e32 v10, v63, v71
	ds_load_2addr_b64 v[25:28], v73 offset0:104 offset1:160
	ds_load_2addr_b64 v[29:32], v22 offset0:88 offset1:144
	ds_load_b64 v[55:56], v61
	ds_load_b64 v[57:58], v66
	;; [unrolled: 1-line block ×4, first 2 shown]
	ds_load_2addr_b32 v[81:82], v74 offset0:144 offset1:145
	ds_load_b64 v[83:84], v17
	ds_load_b64 v[85:86], v19
	;; [unrolled: 1-line block ×4, first 2 shown]
	ds_load_2addr_b64 v[51:54], v74 offset0:128 offset1:184
	ds_load_b64 v[91:92], v10
	v_fma_f32 v13, v33, v13, -v103
	s_waitcnt lgkmcnt(0)
	s_barrier
	buffer_gl0_inv
	v_mul_f32_e32 v105, v34, v26
	v_dual_mul_f32 v106, v34, v25 :: v_dual_sub_f32 v11, v55, v11
	v_mul_f32_e32 v107, v34, v28
	v_dual_mul_f32 v108, v34, v27 :: v_dual_and_b32 v15, 3, v38
	v_mul_f32_e32 v109, v34, v30
	v_mul_f32_e32 v110, v34, v29
	;; [unrolled: 1-line block ×3, first 2 shown]
	s_delay_alu instid0(VALU_DEP_4)
	v_dual_fmac_f32 v108, v33, v28 :: v_dual_lshlrev_b32 v35, 3, v15
	v_dual_mul_f32 v101, v34, v31 :: v_dual_mul_f32 v14, v52, v34
	v_mul_f32_e32 v103, v51, v34
	v_fma_f32 v25, v33, v25, -v105
	v_fmac_f32_e32 v106, v33, v26
	v_mul_f32_e32 v26, v54, v34
	v_fma_f32 v27, v33, v27, -v107
	v_mul_f32_e32 v105, v53, v34
	v_dual_mul_f32 v28, v82, v34 :: v_dual_sub_f32 v13, v57, v13
	s_delay_alu instid0(VALU_DEP_3) | instskip(SKIP_1) | instid1(VALU_DEP_4)
	v_dual_mul_f32 v34, v34, v81 :: v_dual_sub_f32 v27, v79, v27
	v_fma_f32 v29, v33, v29, -v109
	v_dual_fmac_f32 v110, v33, v30 :: v_dual_fmac_f32 v105, v54, v33
	v_fma_f32 v31, v33, v31, -v12
	v_fmac_f32_e32 v101, v33, v32
	v_fma_f32 v51, v51, v33, -v14
	v_fmac_f32_e32 v103, v52, v33
	v_fma_f32 v53, v53, v33, -v26
	v_fma_f32 v52, v33, v81, -v28
	v_dual_fmac_f32 v34, v82, v33 :: v_dual_sub_f32 v31, v85, v31
	v_dual_sub_f32 v12, v56, v102 :: v_dual_sub_f32 v25, v77, v25
	v_dual_sub_f32 v14, v58, v104 :: v_dual_sub_f32 v29, v83, v29
	s_delay_alu instid0(VALU_DEP_4)
	v_dual_sub_f32 v26, v78, v106 :: v_dual_sub_f32 v33, v87, v52
	v_dual_sub_f32 v28, v80, v108 :: v_dual_sub_f32 v51, v89, v51
	;; [unrolled: 1-line block ×3, first 2 shown]
	v_sub_f32_e32 v32, v86, v101
	v_sub_f32_e32 v34, v88, v34
	;; [unrolled: 1-line block ×4, first 2 shown]
	v_fma_f32 v55, v55, 2.0, -v11
	v_fma_f32 v56, v56, 2.0, -v12
	v_fma_f32 v57, v57, 2.0, -v13
	v_fma_f32 v58, v58, 2.0, -v14
	v_fma_f32 v77, v77, 2.0, -v25
	v_fma_f32 v78, v78, 2.0, -v26
	v_fma_f32 v79, v79, 2.0, -v27
	v_fma_f32 v80, v80, 2.0, -v28
	v_fma_f32 v81, v83, 2.0, -v29
	v_fma_f32 v82, v84, 2.0, -v30
	v_fma_f32 v83, v85, 2.0, -v31
	v_fma_f32 v84, v86, 2.0, -v32
	v_fma_f32 v85, v87, 2.0, -v33
	v_fma_f32 v86, v88, 2.0, -v34
	v_fma_f32 v87, v89, 2.0, -v51
	v_fma_f32 v88, v90, 2.0, -v52
	v_fma_f32 v89, v91, 2.0, -v53
	v_fma_f32 v90, v92, 2.0, -v54
	ds_store_2addr_b64 v93, v[55:56], v[11:12] offset1:2
	ds_store_2addr_b64 v94, v[57:58], v[13:14] offset1:2
	;; [unrolled: 1-line block ×9, first 2 shown]
	s_waitcnt lgkmcnt(0)
	s_barrier
	buffer_gl0_inv
	global_load_b64 v[33:34], v35, s[8:9] offset:16
	v_and_or_b32 v11, 0x78, v0, v15
	v_and_or_b32 v12, 0xf8, v1, v15
	;; [unrolled: 1-line block ×5, first 2 shown]
	v_lshl_add_u32 v94, v11, 3, 0
	v_lshl_add_u32 v95, v12, 3, 0
	;; [unrolled: 1-line block ×4, first 2 shown]
	ds_load_2addr_b64 v[11:14], v24 offset0:120 offset1:176
	v_and_or_b32 v26, 0x3f8, v6, v15
	v_and_or_b32 v27, 0x3f8, v7, v15
	v_lshl_add_u32 v98, v25, 3, 0
	v_and_b32_e32 v35, 7, v38
	v_and_or_b32 v23, 0x3f8, v4, v15
	v_lshl_add_u32 v99, v26, 3, 0
	v_lshl_add_u32 v100, v27, 3, 0
	ds_load_2addr_b64 v[25:28], v73 offset0:104 offset1:160
	ds_load_b64 v[55:56], v61
	ds_load_2addr_b64 v[29:32], v22 offset0:88 offset1:144
	ds_load_b64 v[57:58], v21
	ds_load_b64 v[77:78], v66
	ds_load_b64 v[79:80], v61 offset:7616
	ds_load_b64 v[81:82], v18
	ds_load_b64 v[83:84], v17
	;; [unrolled: 1-line block ×6, first 2 shown]
	ds_load_2addr_b64 v[51:54], v74 offset0:72 offset1:128
	v_and_or_b32 v15, 0x3f8, v8, v15
	v_lshlrev_b32_e32 v93, 3, v35
	v_lshl_add_u32 v23, v23, 3, 0
	s_waitcnt vmcnt(0) lgkmcnt(0)
	s_barrier
	v_lshl_add_u32 v15, v15, 3, 0
	buffer_gl0_inv
	v_and_or_b32 v0, 0x70, v0, v35
	v_and_or_b32 v1, 0xf0, v1, v35
	;; [unrolled: 1-line block ×9, first 2 shown]
	v_mul_f32_e32 v101, v34, v12
	v_mul_f32_e32 v102, v34, v11
	v_mul_f32_e32 v108, v34, v27
	s_delay_alu instid0(VALU_DEP_3) | instskip(SKIP_2) | instid1(VALU_DEP_3)
	v_fma_f32 v11, v33, v11, -v101
	v_mul_f32_e32 v101, v34, v31
	v_mul_f32_e32 v104, v34, v13
	v_dual_mul_f32 v110, v34, v29 :: v_dual_sub_f32 v11, v55, v11
	s_delay_alu instid0(VALU_DEP_3) | instskip(NEXT) | instid1(VALU_DEP_3)
	v_fmac_f32_e32 v101, v33, v32
	v_dual_mul_f32 v107, v34, v28 :: v_dual_fmac_f32 v104, v33, v14
	s_delay_alu instid0(VALU_DEP_3) | instskip(NEXT) | instid1(VALU_DEP_2)
	v_fma_f32 v55, v55, 2.0, -v11
	v_fma_f32 v27, v33, v27, -v107
	v_mul_f32_e32 v107, v79, v34
	v_dual_mul_f32 v103, v34, v14 :: v_dual_fmac_f32 v102, v33, v12
	s_delay_alu instid0(VALU_DEP_3) | instskip(NEXT) | instid1(VALU_DEP_3)
	v_sub_f32_e32 v27, v81, v27
	v_fmac_f32_e32 v107, v80, v33
	s_delay_alu instid0(VALU_DEP_3) | instskip(SKIP_3) | instid1(VALU_DEP_3)
	v_fma_f32 v13, v33, v13, -v103
	v_mul_f32_e32 v103, v34, v51
	v_dual_mul_f32 v105, v34, v26 :: v_dual_fmac_f32 v108, v33, v28
	v_mul_f32_e32 v28, v80, v34
	v_dual_mul_f32 v106, v34, v25 :: v_dual_fmac_f32 v103, v33, v52
	v_mul_f32_e32 v109, v34, v30
	v_dual_mul_f32 v12, v34, v32 :: v_dual_sub_f32 v13, v77, v13
	v_fma_f32 v25, v33, v25, -v105
	v_mul_f32_e32 v14, v34, v52
	v_fmac_f32_e32 v106, v33, v26
	v_mul_f32_e32 v26, v54, v34
	v_mul_f32_e32 v105, v53, v34
	v_fma_f32 v29, v33, v29, -v109
	v_fmac_f32_e32 v110, v33, v30
	v_fma_f32 v31, v33, v31, -v12
	s_delay_alu instid0(VALU_DEP_4) | instskip(NEXT) | instid1(VALU_DEP_4)
	v_dual_sub_f32 v12, v56, v102 :: v_dual_fmac_f32 v105, v54, v33
	v_sub_f32_e32 v29, v83, v29
	v_sub_f32_e32 v25, v57, v25
	v_fma_f32 v34, v33, v51, -v14
	v_fma_f32 v51, v53, v33, -v26
	;; [unrolled: 1-line block ×3, first 2 shown]
	v_dual_sub_f32 v14, v78, v104 :: v_dual_sub_f32 v31, v85, v31
	s_delay_alu instid0(VALU_DEP_3) | instskip(SKIP_1) | instid1(VALU_DEP_4)
	v_dual_sub_f32 v26, v58, v106 :: v_dual_sub_f32 v51, v89, v51
	v_dual_sub_f32 v28, v82, v108 :: v_dual_sub_f32 v33, v87, v34
	;; [unrolled: 1-line block ×3, first 2 shown]
	v_sub_f32_e32 v32, v86, v101
	v_sub_f32_e32 v34, v88, v103
	;; [unrolled: 1-line block ×4, first 2 shown]
	v_fma_f32 v56, v56, 2.0, -v12
	v_fma_f32 v77, v77, 2.0, -v13
	;; [unrolled: 1-line block ×17, first 2 shown]
	ds_store_2addr_b64 v94, v[55:56], v[11:12] offset1:4
	ds_store_2addr_b64 v95, v[77:78], v[13:14] offset1:4
	;; [unrolled: 1-line block ×9, first 2 shown]
	s_waitcnt lgkmcnt(0)
	s_barrier
	buffer_gl0_inv
	global_load_b64 v[31:32], v93, s[8:9] offset:48
	v_lshl_add_u32 v86, v0, 3, 0
	v_lshl_add_u32 v87, v1, 3, 0
	v_lshl_add_u32 v88, v2, 3, 0
	v_lshl_add_u32 v89, v3, 3, 0
	ds_load_2addr_b64 v[0:3], v24 offset0:120 offset1:176
	v_lshl_add_u32 v90, v4, 3, 0
	v_lshl_add_u32 v91, v5, 3, 0
	;; [unrolled: 1-line block ×5, first 2 shown]
	ds_load_2addr_b64 v[4:7], v73 offset0:104 offset1:160
	ds_load_b64 v[33:34], v61
	ds_load_2addr_b64 v[11:14], v22 offset0:88 offset1:144
	ds_load_b64 v[51:52], v21
	ds_load_b64 v[53:54], v66
	ds_load_b64 v[55:56], v61 offset:7616
	ds_load_2addr_b64 v[27:30], v74 offset0:72 offset1:128
	ds_load_b64 v[57:58], v18
	ds_load_b64 v[77:78], v17
	;; [unrolled: 1-line block ×6, first 2 shown]
	v_and_b32_e32 v26, 15, v49
	v_and_b32_e32 v23, 15, v40
	s_waitcnt vmcnt(0) lgkmcnt(0)
	s_barrier
	buffer_gl0_inv
	v_and_b32_e32 v25, 15, v38
	v_lshlrev_b32_e32 v35, 4, v23
	s_delay_alu instid0(VALU_DEP_2)
	v_lshlrev_b32_e32 v85, 4, v25
	v_mul_f32_e32 v10, v32, v1
	v_mul_f32_e32 v15, v32, v0
	;; [unrolled: 1-line block ×3, first 2 shown]
	v_dual_mul_f32 v96, v32, v2 :: v_dual_mul_f32 v107, v30, v32
	v_mul_f32_e32 v101, v32, v12
	s_delay_alu instid0(VALU_DEP_4) | instskip(NEXT) | instid1(VALU_DEP_4)
	v_dual_fmac_f32 v15, v31, v1 :: v_dual_mul_f32 v100, v32, v6
	v_dual_mul_f32 v99, v32, v7 :: v_dual_fmac_f32 v98, v31, v5
	s_delay_alu instid0(VALU_DEP_4) | instskip(NEXT) | instid1(VALU_DEP_3)
	v_fmac_f32_e32 v96, v31, v3
	v_sub_f32_e32 v1, v34, v15
	s_delay_alu instid0(VALU_DEP_4) | instskip(SKIP_3) | instid1(VALU_DEP_4)
	v_dual_mul_f32 v103, v32, v14 :: v_dual_fmac_f32 v100, v31, v7
	v_mul_f32_e32 v102, v32, v11
	v_mul_f32_e32 v104, v32, v13
	v_dual_mul_f32 v95, v32, v3 :: v_dual_mul_f32 v108, v29, v32
	v_sub_f32_e32 v7, v58, v100
	s_delay_alu instid0(VALU_DEP_3) | instskip(SKIP_1) | instid1(VALU_DEP_4)
	v_dual_mul_f32 v105, v32, v28 :: v_dual_fmac_f32 v104, v31, v14
	v_mul_f32_e32 v97, v32, v5
	v_dual_mul_f32 v109, v56, v32 :: v_dual_fmac_f32 v108, v30, v31
	v_fma_f32 v0, v31, v0, -v10
	s_delay_alu instid0(VALU_DEP_4)
	v_fma_f32 v14, v31, v27, -v105
	v_sub_f32_e32 v3, v54, v96
	v_dual_fmac_f32 v102, v31, v12 :: v_dual_sub_f32 v5, v52, v98
	v_mul_f32_e32 v106, v32, v27
	v_mul_f32_e32 v32, v55, v32
	v_fma_f32 v27, v29, v31, -v107
	v_fma_f32 v2, v31, v2, -v95
	;; [unrolled: 1-line block ×5, first 2 shown]
	v_sub_f32_e32 v11, v78, v102
	v_fma_f32 v12, v31, v13, -v103
	v_dual_fmac_f32 v106, v31, v28 :: v_dual_sub_f32 v27, v8, v27
	v_fma_f32 v29, v55, v31, -v109
	v_fmac_f32_e32 v32, v56, v31
	v_sub_f32_e32 v0, v33, v0
	v_dual_sub_f32 v2, v53, v2 :: v_dual_sub_f32 v13, v80, v104
	v_sub_f32_e32 v4, v51, v4
	v_sub_f32_e32 v6, v57, v6
	;; [unrolled: 1-line block ×5, first 2 shown]
	v_dual_sub_f32 v15, v82, v106 :: v_dual_sub_f32 v28, v9, v108
	v_dual_sub_f32 v29, v83, v29 :: v_dual_sub_f32 v30, v84, v32
	v_fma_f32 v31, v33, 2.0, -v0
	v_fma_f32 v32, v34, 2.0, -v1
	;; [unrolled: 1-line block ×18, first 2 shown]
	ds_store_2addr_b64 v86, v[31:32], v[0:1] offset1:8
	ds_store_2addr_b64 v87, v[33:34], v[2:3] offset1:8
	;; [unrolled: 1-line block ×9, first 2 shown]
	s_waitcnt lgkmcnt(0)
	s_barrier
	buffer_gl0_inv
	global_load_b128 v[12:15], v35, s[8:9] offset:112
	v_lshlrev_b32_e32 v4, 4, v26
	s_clause 0x1
	global_load_b128 v[0:3], v85, s[8:9] offset:112
	global_load_b128 v[8:11], v4, s[8:9] offset:112
	v_and_b32_e32 v34, 0xff, v40
	v_and_b32_e32 v35, 0xff, v50
	v_lshrrev_b32_e32 v29, 4, v40
	v_lshrrev_b32_e32 v30, 4, v50
	;; [unrolled: 1-line block ×5, first 2 shown]
	v_mul_lo_u16 v34, 0xab, v34
	v_mul_lo_u16 v35, 0xab, v35
	v_lshrrev_b32_e32 v33, 4, v47
	v_mul_lo_u32 v29, v29, 48
	v_mul_lo_u32 v30, v30, 48
	;; [unrolled: 1-line block ×4, first 2 shown]
	v_and_b32_e32 v55, 0xffff, v47
	v_mul_u32_u24_e32 v28, 48, v28
	v_lshrrev_b16 v89, 13, v34
	v_lshrrev_b16 v35, 13, v35
	v_mul_lo_u32 v33, v33, 48
	v_and_b32_e32 v27, 15, v47
	v_mul_u32_u24_e32 v55, 0xaaab, v55
	v_or_b32_e32 v28, v28, v25
	v_or_b32_e32 v23, v29, v23
	v_or_b32_e32 v29, v30, v25
	v_or_b32_e32 v30, v31, v26
	v_or_b32_e32 v31, v32, v25
	v_mul_lo_u16 v25, v89, 48
	v_mul_lo_u16 v26, v35, 48
	v_lshlrev_b32_e32 v4, 4, v27
	v_lshrrev_b32_e32 v92, 21, v55
	v_or_b32_e32 v32, v33, v27
	v_lshl_add_u32 v93, v28, 3, 0
	v_lshl_add_u32 v94, v29, 3, 0
	v_sub_nc_u16 v29, v40, v25
	ds_load_b64 v[33:34], v61 offset:3136
	v_sub_nc_u16 v55, v50, v26
	ds_load_2addr_b64 v[25:28], v22 offset0:88 offset1:144
	v_and_b32_e32 v51, 0xff, v49
	v_lshl_add_u32 v95, v30, 3, 0
	v_lshl_add_u32 v96, v31, 3, 0
	;; [unrolled: 1-line block ×3, first 2 shown]
	v_and_b32_e32 v99, 0xff, v55
	v_mul_lo_u16 v51, 0xab, v51
	ds_load_2addr_b64 v[55:58], v74 offset0:72 offset1:128
	v_mov_b32_e32 v54, 0
	v_subrev_nc_u32_e32 v53, 48, v38
	v_lshl_add_u32 v23, v23, 3, 0
	v_lshrrev_b16 v90, 13, v51
	v_lshlrev_b32_e32 v103, 4, v99
	s_delay_alu instid0(VALU_DEP_2) | instskip(NEXT) | instid1(VALU_DEP_1)
	v_mul_lo_u16 v51, v90, 48
	v_sub_nc_u16 v100, v49, v51
	s_waitcnt vmcnt(2) lgkmcnt(2)
	v_mul_f32_e32 v104, v13, v34
	v_mul_f32_e32 v105, v13, v33
	s_waitcnt lgkmcnt(1)
	v_mul_f32_e32 v13, v15, v26
	global_load_b128 v[4:7], v4, s[8:9] offset:112
	s_waitcnt vmcnt(2)
	v_dual_mul_f32 v107, v27, v3 :: v_dual_and_b32 v52, 0xffff, v48
	v_dual_fmac_f32 v105, v12, v34 :: v_dual_and_b32 v98, 0xff, v29
	ds_load_2addr_b64 v[29:32], v24 offset0:120 offset1:176
	v_mul_u32_u24_e32 v52, 0xaaab, v52
	v_fmac_f32_e32 v107, v28, v2
	v_fma_f32 v33, v12, v33, -v104
	v_lshlrev_b32_e32 v102, 4, v98
	s_delay_alu instid0(VALU_DEP_4) | instskip(NEXT) | instid1(VALU_DEP_1)
	v_lshrrev_b32_e32 v91, 21, v52
	v_mul_lo_u16 v52, v91, 48
	s_delay_alu instid0(VALU_DEP_1)
	v_sub_nc_u16 v101, v48, v52
	ds_load_b64 v[51:52], v20
	ds_load_2addr_b32 v[81:82], v24 offset0:128 offset1:129
	ds_load_2addr_b64 v[77:80], v73 offset0:104 offset1:160
	ds_load_b64 v[83:84], v61 offset:7616
	ds_load_b64 v[85:86], v66
	ds_load_b64 v[87:88], v61
	v_dual_mul_f32 v106, v15, v25 :: v_dual_mul_f32 v15, v28, v3
	s_waitcnt vmcnt(1) lgkmcnt(6)
	v_mul_f32_e32 v34, v29, v9
	v_mul_f32_e32 v108, v31, v1
	v_mul_f32_e32 v12, v30, v9
	v_fmac_f32_e32 v106, v14, v26
	v_mul_f32_e32 v26, v55, v11
	v_mul_f32_e32 v9, v56, v11
	;; [unrolled: 1-line block ×3, first 2 shown]
	v_fmac_f32_e32 v34, v30, v8
	v_fmac_f32_e32 v108, v32, v0
	;; [unrolled: 1-line block ×3, first 2 shown]
	v_mul_f32_e32 v32, v57, v3
	v_fma_f32 v25, v14, v25, -v13
	s_waitcnt lgkmcnt(5)
	v_mul_f32_e32 v56, v1, v51
	v_fma_f32 v27, v27, v2, -v15
	v_fma_f32 v30, v31, v0, -v104
	s_delay_alu instid0(VALU_DEP_3)
	v_dual_mul_f32 v31, v58, v3 :: v_dual_fmac_f32 v56, v0, v52
	v_fmac_f32_e32 v32, v58, v2
	s_waitcnt lgkmcnt(3)
	v_mul_f32_e32 v58, v3, v80
	v_mul_f32_e32 v3, v3, v79
	v_fma_f32 v28, v29, v8, -v12
	v_fma_f32 v29, v55, v10, -v9
	ds_load_b64 v[8:9], v21
	ds_load_b64 v[10:11], v18
	;; [unrolled: 1-line block ×4, first 2 shown]
	v_mul_f32_e32 v55, v1, v52
	v_fma_f32 v31, v57, v2, -v31
	v_mul_f32_e32 v57, v82, v1
	v_mul_f32_e32 v1, v1, v81
	v_fmac_f32_e32 v3, v2, v80
	v_fma_f32 v51, v0, v51, -v55
	v_dual_sub_f32 v80, v105, v106 :: v_dual_add_f32 v113, v28, v29
	s_delay_alu instid0(VALU_DEP_4)
	v_fmac_f32_e32 v1, v82, v0
	s_waitcnt vmcnt(0) lgkmcnt(0)
	s_barrier
	buffer_gl0_inv
	v_mul_f32_e32 v52, v78, v5
	v_mul_f32_e32 v55, v77, v5
	v_fma_f32 v5, v0, v81, -v57
	v_mul_f32_e32 v0, v84, v7
	v_mul_f32_e32 v57, v83, v7
	v_add_f32_e32 v81, v105, v106
	v_fma_f32 v7, v2, v79, -v58
	v_fmac_f32_e32 v55, v78, v4
	v_fma_f32 v58, v83, v6, -v0
	v_dual_add_f32 v0, v87, v51 :: v_dual_add_f32 v83, v9, v1
	v_dual_add_f32 v82, v8, v5 :: v_dual_add_f32 v109, v5, v27
	v_fma_f32 v52, v77, v4, -v52
	v_add_f32_e32 v77, v51, v7
	v_dual_sub_f32 v51, v51, v7 :: v_dual_add_f32 v2, v88, v56
	v_sub_f32_e32 v110, v5, v27
	v_dual_add_f32 v5, v83, v107 :: v_dual_add_f32 v4, v85, v33
	v_fmac_f32_e32 v57, v84, v6
	v_dual_sub_f32 v79, v56, v3 :: v_dual_add_f32 v6, v86, v105
	v_add_f32_e32 v78, v56, v3
	v_dual_add_f32 v56, v33, v25 :: v_dual_add_f32 v105, v11, v34
	v_dual_add_f32 v112, v10, v28 :: v_dual_sub_f32 v33, v33, v25
	v_sub_f32_e32 v84, v1, v107
	v_dual_add_f32 v104, v1, v107 :: v_dual_sub_f32 v111, v34, v26
	v_dual_add_f32 v1, v2, v3 :: v_dual_add_f32 v2, v4, v25
	v_add_f32_e32 v25, v13, v108
	v_sub_f32_e32 v83, v30, v31
	v_dual_add_f32 v4, v82, v27 :: v_dual_add_f32 v27, v12, v30
	v_add_f32_e32 v34, v34, v26
	v_dual_add_f32 v0, v0, v7 :: v_dual_add_f32 v7, v105, v26
	v_add_f32_e32 v3, v6, v106
	v_sub_f32_e32 v105, v55, v57
	v_fma_f32 v87, -0.5, v77, v87
	v_dual_add_f32 v82, v30, v31 :: v_dual_sub_f32 v77, v52, v58
	v_add_f32_e32 v6, v112, v29
	v_fma_f32 v85, -0.5, v56, v85
	v_fma_f32 v8, -0.5, v109, v8
	v_add_f32_e32 v30, v14, v52
	v_sub_f32_e32 v114, v28, v29
	v_add_f32_e32 v28, v15, v55
	v_add_f32_e32 v29, v55, v57
	v_add_f32_e32 v55, v52, v58
	v_dual_fmac_f32 v88, -0.5, v78 :: v_dual_fmac_f32 v9, -0.5, v104
	v_dual_add_f32 v26, v25, v32 :: v_dual_add_f32 v25, v27, v31
	v_dual_sub_f32 v106, v108, v32 :: v_dual_fmac_f32 v11, -0.5, v34
	v_dual_add_f32 v108, v108, v32 :: v_dual_fmac_f32 v15, -0.5, v29
	v_fmac_f32_e32 v86, -0.5, v81
	v_fma_f32 v14, -0.5, v55, v14
	v_fma_f32 v10, -0.5, v113, v10
	s_delay_alu instid0(VALU_DEP_4)
	v_fmac_f32_e32 v13, -0.5, v108
	v_fmamk_f32 v29, v79, 0x3f5db3d7, v87
	v_fma_f32 v12, -0.5, v82, v12
	v_fmamk_f32 v31, v80, 0x3f5db3d7, v85
	v_dual_fmac_f32 v85, 0xbf5db3d7, v80 :: v_dual_fmamk_f32 v32, v33, 0xbf5db3d7, v86
	v_fmac_f32_e32 v86, 0x3f5db3d7, v33
	v_fmamk_f32 v33, v84, 0x3f5db3d7, v8
	v_dual_add_f32 v27, v30, v58 :: v_dual_fmamk_f32 v30, v51, 0xbf5db3d7, v88
	v_fmac_f32_e32 v87, 0xbf5db3d7, v79
	v_fmac_f32_e32 v88, 0x3f5db3d7, v51
	v_dual_add_f32 v28, v28, v57 :: v_dual_fmamk_f32 v51, v111, 0x3f5db3d7, v10
	v_fmamk_f32 v34, v110, 0xbf5db3d7, v9
	v_fmamk_f32 v57, v105, 0x3f5db3d7, v14
	v_fmac_f32_e32 v14, 0xbf5db3d7, v105
	v_fmac_f32_e32 v8, 0xbf5db3d7, v84
	;; [unrolled: 1-line block ×4, first 2 shown]
	v_fmamk_f32 v52, v114, 0xbf5db3d7, v11
	v_fmac_f32_e32 v11, 0x3f5db3d7, v114
	v_fmamk_f32 v55, v106, 0x3f5db3d7, v12
	v_fmac_f32_e32 v12, 0xbf5db3d7, v106
	;; [unrolled: 2-line block ×4, first 2 shown]
	ds_store_2addr_b64 v93, v[0:1], v[29:30] offset1:16
	ds_store_b64 v93, v[87:88] offset:256
	ds_store_2addr_b64 v23, v[2:3], v[31:32] offset1:16
	ds_store_b64 v23, v[85:86] offset:256
	;; [unrolled: 2-line block ×6, first 2 shown]
	v_cndmask_b32_e64 v14, v53, v38, s0
	v_mul_lo_u16 v0, v92, 48
	s_waitcnt lgkmcnt(0)
	s_barrier
	buffer_gl0_inv
	v_lshlrev_b32_e32 v53, 1, v14
	v_sub_nc_u16 v25, v47, v0
	s_clause 0x1
	global_load_b128 v[2:5], v102, s[8:9] offset:368
	global_load_b128 v[6:9], v103, s[8:9] offset:368
	v_and_b32_e32 v15, 0xff, v100
	v_lshlrev_b64 v[0:1], 3, v[53:54]
	v_and_b32_e32 v23, 0xffff, v101
	v_and_b32_e32 v33, 0xffff, v25
	v_lshlrev_b32_e32 v51, 3, v98
	v_lshlrev_b32_e32 v10, 4, v15
	;; [unrolled: 1-line block ×3, first 2 shown]
	v_add_co_u32 v0, s0, s8, v0
	v_lshlrev_b32_e32 v26, 4, v23
	v_add_co_ci_u32_e64 v1, s0, s9, v1, s0
	v_lshlrev_b32_e32 v34, 4, v33
	s_clause 0x3
	global_load_b128 v[10:13], v10, s[8:9] offset:368
	global_load_b128 v[25:28], v26, s[8:9] offset:368
	global_load_b128 v[29:32], v[0:1], off offset:368
	global_load_b128 v[55:58], v34, s[8:9] offset:368
	v_cmp_lt_u32_e64 s0, 47, v38
	v_lshlrev_b32_e32 v1, 3, v14
	ds_load_2addr_b64 v[77:80], v72 offset0:136 offset1:192
	ds_load_2addr_b64 v[81:84], v22 offset0:88 offset1:144
	v_and_b32_e32 v14, 0xffff, v89
	v_cndmask_b32_e64 v0, 0, 0x480, s0
	v_mul_u32_u24_e32 v34, 0x480, v91
	v_lshlrev_b32_e32 v52, 3, v99
	v_lshlrev_b32_e32 v23, 3, v23
	v_mul_u32_u24_e32 v14, 0x480, v14
	v_add3_u32 v53, 0, v0, v1
	v_and_b32_e32 v0, 0xffff, v35
	v_and_b32_e32 v1, 0xffff, v90
	v_mul_u32_u24_e32 v35, 0x480, v92
	v_lshlrev_b32_e32 v33, 3, v33
	v_add3_u32 v103, 0, v14, v51
	v_mul_u32_u24_e32 v0, 0x480, v0
	v_mul_u32_u24_e32 v1, 0x480, v1
	v_add3_u32 v23, 0, v34, v23
	v_add3_u32 v35, 0, v35, v33
	v_cmp_gt_u32_e64 s0, 32, v38
	v_add3_u32 v104, 0, v0, v52
	v_add3_u32 v105, 0, v1, v15
	ds_load_2addr_b64 v[85:88], v24 offset0:120 offset1:176
	ds_load_2addr_b64 v[89:92], v74 offset0:72 offset1:128
	ds_load_2addr_b64 v[93:96], v73 offset0:104 offset1:160
	ds_load_b64 v[14:15], v21
	ds_load_b64 v[21:22], v66
	ds_load_b64 v[33:34], v61 offset:7616
	ds_load_b64 v[97:98], v61
	ds_load_b64 v[99:100], v18
	;; [unrolled: 1-line block ×5, first 2 shown]
	s_waitcnt vmcnt(0) lgkmcnt(0)
	s_barrier
	buffer_gl0_inv
	v_mul_f32_e32 v17, v3, v78
	v_dual_mul_f32 v3, v3, v77 :: v_dual_mul_f32 v18, v5, v82
	v_mul_f32_e32 v5, v5, v81
	v_mul_f32_e32 v19, v80, v7
	;; [unrolled: 1-line block ×3, first 2 shown]
	v_fma_f32 v17, v2, v77, -v17
	v_dual_fmac_f32 v3, v2, v78 :: v_dual_mul_f32 v2, v84, v9
	v_fma_f32 v18, v4, v81, -v18
	v_dual_fmac_f32 v5, v4, v82 :: v_dual_mul_f32 v4, v83, v9
	v_fma_f32 v19, v79, v6, -v19
	v_fmac_f32_e32 v7, v80, v6
	v_fma_f32 v77, v83, v8, -v2
	v_mul_f32_e32 v9, v86, v11
	v_dual_mul_f32 v11, v85, v11 :: v_dual_mul_f32 v6, v90, v13
	v_dual_mul_f32 v13, v89, v13 :: v_dual_fmac_f32 v4, v84, v8
	v_mul_f32_e32 v20, v88, v26
	v_mul_f32_e32 v26, v87, v26
	s_delay_alu instid0(VALU_DEP_4)
	v_dual_mul_f32 v2, v92, v28 :: v_dual_fmac_f32 v11, v86, v10
	v_mul_f32_e32 v8, v30, v102
	v_mul_f32_e32 v78, v32, v96
	v_dual_mul_f32 v32, v32, v95 :: v_dual_mul_f32 v79, v94, v56
	v_dual_mul_f32 v56, v93, v56 :: v_dual_add_f32 v81, v15, v7
	v_mul_f32_e32 v30, v30, v101
	v_fma_f32 v9, v85, v10, -v9
	v_fma_f32 v6, v89, v12, -v6
	v_fmac_f32_e32 v13, v90, v12
	v_mul_f32_e32 v10, v34, v58
	v_mul_f32_e32 v58, v33, v58
	v_fma_f32 v12, v87, v25, -v20
	v_fmac_f32_e32 v26, v88, v25
	v_fma_f32 v20, v91, v27, -v2
	v_fma_f32 v25, v93, v55, -v79
	v_dual_fmac_f32 v56, v94, v55 :: v_dual_sub_f32 v87, v11, v13
	v_add_f32_e32 v55, v21, v17
	v_fma_f32 v2, v29, v101, -v8
	v_sub_f32_e32 v79, v3, v5
	v_fma_f32 v8, v31, v95, -v78
	v_dual_fmac_f32 v30, v29, v102 :: v_dual_add_f32 v85, v19, v77
	v_mul_f32_e32 v28, v91, v28
	v_dual_fmac_f32 v32, v31, v96 :: v_dual_sub_f32 v83, v17, v18
	s_delay_alu instid0(VALU_DEP_4) | instskip(SKIP_1) | instid1(VALU_DEP_3)
	v_add_f32_e32 v29, v2, v8
	v_fmac_f32_e32 v58, v34, v57
	v_dual_fmac_f32 v28, v92, v27 :: v_dual_sub_f32 v31, v30, v32
	v_sub_f32_e32 v84, v7, v4
	v_add_f32_e32 v7, v7, v4
	v_fma_f32 v27, v33, v57, -v10
	v_add_f32_e32 v10, v97, v2
	v_add_f32_e32 v33, v98, v30
	v_dual_add_f32 v57, v17, v18 :: v_dual_add_f32 v82, v14, v19
	s_delay_alu instid0(VALU_DEP_4)
	v_dual_sub_f32 v86, v19, v77 :: v_dual_sub_f32 v107, v25, v27
	v_add_f32_e32 v17, v100, v11
	v_add_f32_e32 v19, v11, v13
	v_fma_f32 v97, -0.5, v29, v97
	v_dual_add_f32 v30, v30, v32 :: v_dual_add_f32 v89, v9, v6
	v_dual_add_f32 v78, v22, v3 :: v_dual_add_f32 v93, v51, v12
	v_dual_add_f32 v80, v3, v5 :: v_dual_sub_f32 v95, v12, v20
	v_dual_sub_f32 v92, v26, v28 :: v_dual_add_f32 v13, v17, v13
	v_add_f32_e32 v106, v1, v56
	v_dual_fmac_f32 v100, -0.5, v19 :: v_dual_fmamk_f32 v19, v31, 0x3f5db3d7, v97
	v_add_f32_e32 v94, v12, v20
	v_dual_sub_f32 v34, v2, v8 :: v_dual_add_f32 v91, v52, v26
	v_dual_add_f32 v26, v26, v28 :: v_dual_fmac_f32 v15, -0.5, v7
	v_sub_f32_e32 v102, v56, v58
	v_dual_add_f32 v56, v56, v58 :: v_dual_fmac_f32 v97, 0xbf5db3d7, v31
	v_dual_add_f32 v88, v99, v9 :: v_dual_add_f32 v11, v81, v4
	v_add_f32_e32 v101, v25, v27
	v_fma_f32 v99, -0.5, v89, v99
	v_fmac_f32_e32 v98, -0.5, v30
	v_dual_sub_f32 v90, v9, v6 :: v_dual_add_f32 v9, v78, v5
	v_fma_f32 v21, -0.5, v57, v21
	v_add_f32_e32 v5, v106, v58
	v_fma_f32 v51, -0.5, v94, v51
	v_fmac_f32_e32 v22, -0.5, v80
	v_dual_add_f32 v96, v0, v25 :: v_dual_add_f32 v17, v93, v20
	v_fma_f32 v14, -0.5, v85, v14
	v_dual_fmac_f32 v1, -0.5, v56 :: v_dual_fmac_f32 v52, -0.5, v26
	v_dual_add_f32 v2, v10, v8 :: v_dual_fmamk_f32 v25, v79, 0x3f5db3d7, v21
	v_dual_add_f32 v3, v33, v32 :: v_dual_add_f32 v12, v88, v6
	v_fmamk_f32 v29, v87, 0x3f5db3d7, v99
	v_fma_f32 v0, -0.5, v101, v0
	v_dual_fmac_f32 v99, 0xbf5db3d7, v87 :: v_dual_fmamk_f32 v20, v34, 0xbf5db3d7, v98
	v_fmac_f32_e32 v98, 0x3f5db3d7, v34
	v_dual_add_f32 v8, v55, v18 :: v_dual_fmac_f32 v21, 0xbf5db3d7, v79
	v_fmamk_f32 v31, v92, 0x3f5db3d7, v51
	v_fmamk_f32 v26, v83, 0xbf5db3d7, v22
	v_fmac_f32_e32 v22, 0x3f5db3d7, v83
	v_add_f32_e32 v10, v82, v77
	v_add_f32_e32 v18, v91, v28
	;; [unrolled: 1-line block ×3, first 2 shown]
	v_fmamk_f32 v27, v84, 0x3f5db3d7, v14
	v_fmac_f32_e32 v14, 0xbf5db3d7, v84
	v_fmamk_f32 v28, v86, 0xbf5db3d7, v15
	v_fmac_f32_e32 v15, 0x3f5db3d7, v86
	v_dual_fmac_f32 v51, 0xbf5db3d7, v92 :: v_dual_fmamk_f32 v30, v90, 0xbf5db3d7, v100
	v_fmamk_f32 v7, v107, 0xbf5db3d7, v1
	v_fmamk_f32 v32, v95, 0xbf5db3d7, v52
	v_fmac_f32_e32 v100, 0x3f5db3d7, v90
	v_fmac_f32_e32 v52, 0x3f5db3d7, v95
	v_fmamk_f32 v6, v102, 0x3f5db3d7, v0
	v_fmac_f32_e32 v0, 0xbf5db3d7, v102
	v_fmac_f32_e32 v1, 0x3f5db3d7, v107
	ds_store_2addr_b64 v53, v[2:3], v[19:20] offset1:48
	ds_store_b64 v53, v[97:98] offset:768
	ds_store_2addr_b64 v103, v[8:9], v[25:26] offset1:48
	ds_store_b64 v103, v[21:22] offset:768
	;; [unrolled: 2-line block ×6, first 2 shown]
	s_waitcnt lgkmcnt(0)
	s_barrier
	buffer_gl0_inv
	ds_load_2addr_b64 v[12:15], v61 offset1:144
	ds_load_2addr_b64 v[16:19], v16 offset0:72 offset1:160
	ds_load_2addr_b64 v[20:23], v72 offset0:88 offset1:176
	;; [unrolled: 1-line block ×5, first 2 shown]
	ds_load_b64 v[55:56], v66
	ds_load_b64 v[57:58], v61 offset:7360
	v_sub_nc_u32_e32 v2, 0, v76
                                        ; implicit-def: $vgpr11
	s_delay_alu instid0(VALU_DEP_1)
	v_add_nc_u32_e32 v75, v75, v2
	s_and_saveexec_b32 s1, s0
	s_cbranch_execz .LBB0_15
; %bb.14:
	ds_load_b64 v[51:52], v75
	ds_load_2addr_b64 v[4:7], v72 offset1:144
	ds_load_2addr_b64 v[0:3], v73 offset0:32 offset1:176
	ds_load_2addr_b64 v[8:11], v74 offset0:64 offset1:208
.LBB0_15:
	s_or_b32 exec_lo, exec_lo, s1
	v_mul_u32_u24_e32 v53, 6, v38
	s_delay_alu instid0(VALU_DEP_1)
	v_lshlrev_b32_e32 v74, 3, v53
	v_mul_i32_i24_e32 v53, 6, v40
	s_clause 0x1
	global_load_b128 v[76:79], v74, s[8:9] offset:1136
	global_load_b128 v[80:83], v74, s[8:9] offset:1152
	v_lshlrev_b64 v[53:54], 3, v[53:54]
	global_load_b128 v[84:87], v74, s[8:9] offset:1168
	v_add_co_u32 v53, s1, s8, v53
	s_delay_alu instid0(VALU_DEP_1)
	v_add_co_ci_u32_e64 v54, s1, s9, v54, s1
	s_clause 0x2
	global_load_b128 v[88:91], v[53:54], off offset:1136
	global_load_b128 v[92:95], v[53:54], off offset:1152
	;; [unrolled: 1-line block ×3, first 2 shown]
	v_add_nc_u32_e32 v53, 0x800, v66
	v_add_nc_u32_e32 v54, 0x1000, v66
	s_waitcnt vmcnt(0) lgkmcnt(0)
	s_barrier
	buffer_gl0_inv
	v_mul_f32_e32 v74, v77, v15
	v_mul_f32_e32 v101, v81, v23
	v_dual_mul_f32 v77, v77, v14 :: v_dual_mul_f32 v100, v79, v19
	v_mul_f32_e32 v81, v81, v22
	v_mul_f32_e32 v103, v85, v31
	;; [unrolled: 1-line block ×3, first 2 shown]
	v_dual_mul_f32 v102, v83, v27 :: v_dual_mul_f32 v85, v85, v30
	v_mul_f32_e32 v104, v87, v35
	v_mul_f32_e32 v87, v87, v34
	v_fma_f32 v14, v76, v14, -v74
	v_fmac_f32_e32 v77, v76, v15
	v_fma_f32 v15, v78, v18, -v100
	v_fma_f32 v18, v80, v22, -v101
	;; [unrolled: 1-line block ×3, first 2 shown]
	v_dual_mul_f32 v76, v28, v95 :: v_dual_mul_f32 v83, v83, v26
	v_fmac_f32_e32 v79, v78, v19
	v_fma_f32 v19, v82, v26, -v102
	s_delay_alu instid0(VALU_DEP_3)
	v_dual_fmac_f32 v85, v84, v31 :: v_dual_fmac_f32 v76, v29, v94
	v_fmac_f32_e32 v81, v80, v23
	v_fma_f32 v23, v86, v34, -v104
	v_mul_f32_e32 v74, v29, v95
	v_dual_mul_f32 v80, v32, v97 :: v_dual_fmac_f32 v87, v86, v35
	v_dual_mul_f32 v35, v24, v93 :: v_dual_mul_f32 v84, v57, v99
	v_mul_f32_e32 v26, v89, v17
	v_mul_f32_e32 v30, v91, v21
	v_dual_mul_f32 v31, v91, v20 :: v_dual_mul_f32 v34, v25, v93
	v_fmac_f32_e32 v83, v82, v27
	v_mul_f32_e32 v27, v89, v16
	v_mul_f32_e32 v78, v33, v97
	v_mul_f32_e32 v82, v58, v99
	v_add_f32_e32 v86, v14, v23
	v_sub_f32_e32 v14, v14, v23
	v_fmac_f32_e32 v80, v33, v96
	v_dual_add_f32 v89, v77, v87 :: v_dual_fmac_f32 v84, v58, v98
	v_sub_f32_e32 v23, v77, v87
	v_add_f32_e32 v77, v15, v22
	v_add_f32_e32 v87, v79, v85
	v_sub_f32_e32 v15, v15, v22
	v_dual_sub_f32 v22, v79, v85 :: v_dual_add_f32 v79, v18, v19
	v_dual_sub_f32 v18, v19, v18 :: v_dual_add_f32 v85, v81, v83
	v_fma_f32 v16, v88, v16, -v26
	v_fmac_f32_e32 v27, v88, v17
	v_fma_f32 v17, v90, v20, -v30
	s_delay_alu instid0(VALU_DEP_4)
	v_add_f32_e32 v58, v18, v15
	v_fma_f32 v20, v24, v92, -v34
	v_fma_f32 v24, v32, v96, -v78
	v_dual_add_f32 v26, v77, v86 :: v_dual_sub_f32 v19, v83, v81
	v_sub_f32_e32 v32, v86, v79
	v_fmac_f32_e32 v31, v90, v21
	v_dual_fmac_f32 v35, v25, v92 :: v_dual_sub_f32 v34, v79, v77
	v_fma_f32 v21, v28, v94, -v74
	v_fma_f32 v25, v57, v98, -v82
	v_dual_add_f32 v28, v87, v89 :: v_dual_sub_f32 v29, v77, v86
	v_sub_f32_e32 v30, v87, v89
	v_dual_sub_f32 v33, v89, v85 :: v_dual_sub_f32 v78, v19, v22
	v_dual_sub_f32 v57, v85, v87 :: v_dual_add_f32 v74, v19, v22
	v_dual_sub_f32 v77, v18, v15 :: v_dual_add_f32 v82, v27, v84
	v_dual_sub_f32 v18, v14, v18 :: v_dual_sub_f32 v19, v23, v19
	v_dual_sub_f32 v15, v15, v14 :: v_dual_sub_f32 v22, v22, v23
	v_add_f32_e32 v81, v16, v25
	v_dual_sub_f32 v16, v16, v25 :: v_dual_sub_f32 v25, v27, v84
	v_dual_add_f32 v14, v58, v14 :: v_dual_add_f32 v27, v17, v24
	v_add_f32_e32 v26, v79, v26
	v_dual_add_f32 v83, v31, v80 :: v_dual_mul_f32 v58, 0x3d64c772, v57
	v_sub_f32_e32 v17, v17, v24
	v_dual_sub_f32 v24, v31, v80 :: v_dual_add_f32 v31, v20, v21
	v_add_f32_e32 v80, v35, v76
	v_dual_sub_f32 v20, v21, v20 :: v_dual_sub_f32 v21, v76, v35
	v_dual_add_f32 v28, v85, v28 :: v_dual_add_f32 v23, v74, v23
	v_dual_mul_f32 v32, 0x3f4a47b2, v32 :: v_dual_mul_f32 v33, 0x3f4a47b2, v33
	v_add_f32_e32 v84, v83, v82
	v_mul_f32_e32 v35, 0x3d64c772, v34
	v_mul_f32_e32 v74, 0xbf08b237, v77
	v_dual_mul_f32 v76, 0xbf08b237, v78 :: v_dual_add_f32 v79, v27, v81
	v_dual_mul_f32 v77, 0x3f5ff5aa, v15 :: v_dual_mul_f32 v78, 0x3f5ff5aa, v22
	v_dual_sub_f32 v85, v27, v81 :: v_dual_add_f32 v88, v21, v24
	v_dual_sub_f32 v86, v83, v82 :: v_dual_sub_f32 v81, v81, v31
	v_dual_sub_f32 v82, v82, v80 :: v_dual_add_f32 v87, v20, v17
	v_sub_f32_e32 v89, v20, v17
	v_dual_add_f32 v12, v12, v26 :: v_dual_add_f32 v13, v13, v28
	v_dual_sub_f32 v27, v31, v27 :: v_dual_sub_f32 v90, v21, v24
	v_dual_sub_f32 v83, v80, v83 :: v_dual_fmamk_f32 v34, v34, 0x3d64c772, v32
	v_dual_sub_f32 v20, v16, v20 :: v_dual_sub_f32 v21, v25, v21
	v_dual_sub_f32 v17, v17, v16 :: v_dual_sub_f32 v24, v24, v25
	v_fma_f32 v35, 0x3f3bfb3b, v29, -v35
	v_fma_f32 v58, 0x3f3bfb3b, v30, -v58
	;; [unrolled: 1-line block ×4, first 2 shown]
	v_fmamk_f32 v32, v18, 0x3eae86e6, v74
	v_dual_fmamk_f32 v57, v57, 0x3d64c772, v33 :: v_dual_add_f32 v16, v87, v16
	v_fma_f32 v74, 0x3f5ff5aa, v15, -v74
	v_fma_f32 v22, 0x3f5ff5aa, v22, -v76
	v_fmamk_f32 v28, v28, 0xbf955555, v13
	v_fmamk_f32 v33, v19, 0x3eae86e6, v76
	v_fma_f32 v76, 0xbeae86e6, v18, -v77
	v_fma_f32 v77, 0xbeae86e6, v19, -v78
	v_dual_add_f32 v18, v31, v79 :: v_dual_add_f32 v19, v80, v84
	v_dual_mul_f32 v78, 0x3f4a47b2, v82 :: v_dual_mul_f32 v31, 0x3f4a47b2, v81
	v_dual_mul_f32 v81, 0xbf08b237, v89 :: v_dual_mul_f32 v82, 0xbf08b237, v90
	v_dual_add_f32 v25, v88, v25 :: v_dual_mul_f32 v80, 0x3d64c772, v83
	v_mul_f32_e32 v79, 0x3d64c772, v27
	v_dual_mul_f32 v84, 0x3f5ff5aa, v17 :: v_dual_mul_f32 v87, 0x3f5ff5aa, v24
	v_dual_fmamk_f32 v26, v26, 0xbf955555, v12 :: v_dual_add_f32 v15, v56, v19
	v_fmac_f32_e32 v32, 0x3ee1c552, v14
	v_dual_fmac_f32 v74, 0x3ee1c552, v14 :: v_dual_fmac_f32 v77, 0x3ee1c552, v23
	v_fmamk_f32 v56, v83, 0x3d64c772, v78
	v_fmamk_f32 v83, v20, 0x3eae86e6, v81
	v_fmac_f32_e32 v76, 0x3ee1c552, v14
	v_add_f32_e32 v14, v55, v18
	v_fmac_f32_e32 v22, 0x3ee1c552, v23
	v_fmamk_f32 v55, v27, 0x3d64c772, v31
	v_fma_f32 v79, 0x3f3bfb3b, v85, -v79
	v_fma_f32 v80, 0x3f3bfb3b, v86, -v80
	;; [unrolled: 1-line block ×7, first 2 shown]
	v_add_f32_e32 v27, v34, v26
	v_fmamk_f32 v85, v21, 0x3eae86e6, v82
	v_fma_f32 v82, 0x3f5ff5aa, v24, -v82
	v_dual_add_f32 v34, v57, v28 :: v_dual_fmac_f32 v33, 0x3ee1c552, v23
	v_dual_add_f32 v23, v35, v26 :: v_dual_add_f32 v24, v58, v28
	v_add_f32_e32 v28, v30, v28
	v_dual_add_f32 v26, v29, v26 :: v_dual_fmamk_f32 v29, v18, 0xbf955555, v14
	v_fmamk_f32 v30, v19, 0xbf955555, v15
	v_fmac_f32_e32 v83, 0x3ee1c552, v16
	v_dual_fmac_f32 v85, 0x3ee1c552, v25 :: v_dual_fmac_f32 v84, 0x3ee1c552, v16
	v_dual_fmac_f32 v81, 0x3ee1c552, v16 :: v_dual_fmac_f32 v82, 0x3ee1c552, v25
	v_dual_fmac_f32 v86, 0x3ee1c552, v25 :: v_dual_sub_f32 v17, v34, v32
	v_dual_add_f32 v16, v33, v27 :: v_dual_sub_f32 v19, v28, v76
	v_dual_add_f32 v18, v77, v26 :: v_dual_add_f32 v21, v74, v24
	v_dual_sub_f32 v20, v23, v22 :: v_dual_add_f32 v25, v76, v28
	v_dual_add_f32 v22, v22, v23 :: v_dual_sub_f32 v23, v24, v74
	v_sub_f32_e32 v24, v26, v77
	v_dual_sub_f32 v26, v27, v33 :: v_dual_add_f32 v27, v32, v34
	v_dual_add_f32 v32, v56, v30 :: v_dual_add_f32 v33, v79, v29
	v_add_f32_e32 v34, v80, v30
	v_add_f32_e32 v30, v78, v30
	ds_store_2addr_b64 v61, v[12:13], v[16:17] offset1:144
	ds_store_2addr_b64 v72, v[18:19], v[20:21] offset0:32 offset1:176
	ds_store_2addr_b64 v73, v[22:23], v[24:25] offset0:64 offset1:208
	v_add_f32_e32 v25, v83, v32
	v_add_f32_e32 v28, v55, v29
	;; [unrolled: 1-line block ×3, first 2 shown]
	v_sub_f32_e32 v17, v30, v84
	v_dual_sub_f32 v13, v32, v83 :: v_dual_sub_f32 v18, v33, v82
	s_delay_alu instid0(VALU_DEP_4) | instskip(NEXT) | instid1(VALU_DEP_4)
	v_dual_add_f32 v12, v85, v28 :: v_dual_sub_f32 v21, v34, v81
	v_dual_add_f32 v16, v86, v29 :: v_dual_add_f32 v19, v81, v34
	v_dual_add_f32 v20, v82, v33 :: v_dual_add_f32 v23, v84, v30
	v_sub_f32_e32 v22, v29, v86
	v_sub_f32_e32 v24, v28, v85
	ds_store_b64 v61, v[26:27] offset:6912
	ds_store_2addr_b64 v66, v[14:15], v[12:13] offset1:144
	ds_store_2addr_b64 v53, v[16:17], v[18:19] offset0:32 offset1:176
	ds_store_2addr_b64 v54, v[20:21], v[22:23] offset0:64 offset1:208
	ds_store_b64 v66, v[24:25] offset:6912
	s_and_saveexec_b32 s1, s0
	s_cbranch_execz .LBB0_17
; %bb.16:
	v_subrev_nc_u32_e32 v12, 32, v38
	v_dual_mov_b32 v13, 0 :: v_dual_add_nc_u32 v24, 0x200, v61
	s_delay_alu instid0(VALU_DEP_2) | instskip(NEXT) | instid1(VALU_DEP_1)
	v_cndmask_b32_e64 v12, v12, v50, s0
	v_mul_i32_i24_e32 v12, 6, v12
	s_delay_alu instid0(VALU_DEP_1) | instskip(NEXT) | instid1(VALU_DEP_1)
	v_lshlrev_b64 v[12:13], 3, v[12:13]
	v_add_co_u32 v20, s0, s8, v12
	s_delay_alu instid0(VALU_DEP_1)
	v_add_co_ci_u32_e64 v21, s0, s9, v13, s0
	s_clause 0x2
	global_load_b128 v[12:15], v[20:21], off offset:1136
	global_load_b128 v[16:19], v[20:21], off offset:1168
	;; [unrolled: 1-line block ×3, first 2 shown]
	v_add_nc_u32_e32 v25, 0xc00, v61
	s_waitcnt vmcnt(2)
	v_dual_mul_f32 v31, v7, v15 :: v_dual_add_nc_u32 v26, 0x1400, v61
	s_waitcnt vmcnt(1)
	v_mul_f32_e32 v28, v11, v19
	s_waitcnt vmcnt(0)
	v_dual_mul_f32 v29, v3, v23 :: v_dual_mul_f32 v30, v1, v21
	v_dual_mul_f32 v32, v9, v17 :: v_dual_mul_f32 v19, v10, v19
	s_delay_alu instid0(VALU_DEP_3) | instskip(SKIP_1) | instid1(VALU_DEP_3)
	v_fma_f32 v10, v10, v18, -v28
	v_mul_f32_e32 v27, v5, v13
	v_fmac_f32_e32 v19, v11, v18
	v_mul_f32_e32 v21, v0, v21
	v_fma_f32 v0, v0, v20, -v30
	v_mul_f32_e32 v23, v2, v23
	v_fma_f32 v2, v2, v22, -v29
	s_delay_alu instid0(VALU_DEP_2) | instskip(SKIP_2) | instid1(VALU_DEP_4)
	v_fmac_f32_e32 v23, v3, v22
	v_mul_f32_e32 v15, v6, v15
	v_fma_f32 v6, v6, v14, -v31
	v_sub_f32_e32 v3, v2, v0
	v_mul_f32_e32 v17, v8, v17
	v_fma_f32 v8, v8, v16, -v32
	v_mul_f32_e32 v13, v4, v13
	v_fma_f32 v4, v4, v12, -v27
	v_add_f32_e32 v0, v0, v2
	s_delay_alu instid0(VALU_DEP_4) | instskip(NEXT) | instid1(VALU_DEP_4)
	v_add_f32_e32 v2, v6, v8
	v_fmac_f32_e32 v13, v5, v12
	s_delay_alu instid0(VALU_DEP_2) | instskip(NEXT) | instid1(VALU_DEP_2)
	v_dual_sub_f32 v5, v6, v8 :: v_dual_sub_f32 v18, v0, v2
	v_sub_f32_e32 v6, v13, v19
	v_fmac_f32_e32 v21, v1, v20
	v_sub_f32_e32 v1, v4, v10
	v_add_f32_e32 v4, v4, v10
	s_delay_alu instid0(VALU_DEP_3) | instskip(NEXT) | instid1(VALU_DEP_3)
	v_sub_f32_e32 v8, v23, v21
	v_dual_fmac_f32 v15, v7, v14 :: v_dual_sub_f32 v12, v1, v3
	v_fmac_f32_e32 v17, v9, v16
	s_delay_alu instid0(VALU_DEP_3) | instskip(NEXT) | instid1(VALU_DEP_2)
	v_sub_f32_e32 v20, v6, v8
	v_dual_sub_f32 v10, v15, v17 :: v_dual_add_f32 v7, v13, v19
	v_add_f32_e32 v19, v2, v4
	v_dual_sub_f32 v2, v2, v4 :: v_dual_add_f32 v9, v21, v23
	s_delay_alu instid0(VALU_DEP_3) | instskip(SKIP_2) | instid1(VALU_DEP_4)
	v_sub_f32_e32 v21, v8, v10
	v_dual_add_f32 v8, v8, v10 :: v_dual_add_f32 v11, v15, v17
	v_dual_sub_f32 v17, v4, v0 :: v_dual_sub_f32 v4, v10, v6
	v_sub_f32_e32 v14, v7, v9
	s_delay_alu instid0(VALU_DEP_3) | instskip(NEXT) | instid1(VALU_DEP_4)
	v_dual_sub_f32 v13, v3, v5 :: v_dual_add_f32 v6, v8, v6
	v_sub_f32_e32 v15, v9, v11
	v_add_f32_e32 v16, v11, v7
	v_sub_f32_e32 v7, v11, v7
	v_dual_mul_f32 v11, 0x3f4a47b2, v14 :: v_dual_mul_f32 v14, 0x3f4a47b2, v17
	v_add_f32_e32 v3, v3, v5
	s_delay_alu instid0(VALU_DEP_4) | instskip(SKIP_1) | instid1(VALU_DEP_3)
	v_dual_add_f32 v9, v9, v16 :: v_dual_mul_f32 v16, 0x3d64c772, v18
	v_mul_f32_e32 v10, 0xbf08b237, v13
	v_dual_fmamk_f32 v18, v18, 0x3d64c772, v14 :: v_dual_add_f32 v3, v3, v1
	v_sub_f32_e32 v5, v5, v1
	v_add_f32_e32 v17, v0, v19
	v_mul_f32_e32 v19, 0xbf08b237, v21
	v_fmamk_f32 v22, v12, 0x3eae86e6, v10
	s_delay_alu instid0(VALU_DEP_4) | instskip(NEXT) | instid1(VALU_DEP_3)
	v_mul_f32_e32 v8, 0x3f5ff5aa, v5
	v_dual_add_f32 v0, v51, v17 :: v_dual_fmamk_f32 v23, v20, 0x3eae86e6, v19
	v_fma_f32 v19, 0x3f5ff5aa, v4, -v19
	s_delay_alu instid0(VALU_DEP_3) | instskip(SKIP_1) | instid1(VALU_DEP_4)
	v_fma_f32 v12, 0xbeae86e6, v12, -v8
	v_fma_f32 v8, 0xbf3bfb3b, v7, -v11
	v_fmac_f32_e32 v23, 0x3ee1c552, v6
	s_delay_alu instid0(VALU_DEP_3)
	v_dual_fmac_f32 v19, 0x3ee1c552, v6 :: v_dual_fmac_f32 v12, 0x3ee1c552, v3
	v_fma_f32 v10, 0x3f5ff5aa, v5, -v10
	v_fmamk_f32 v5, v17, 0xbf955555, v0
	v_mul_f32_e32 v13, 0x3d64c772, v15
	v_fmamk_f32 v15, v15, 0x3d64c772, v11
	v_fma_f32 v11, 0xbf3bfb3b, v2, -v14
	v_fma_f32 v2, 0x3f3bfb3b, v2, -v16
	s_delay_alu instid0(VALU_DEP_2) | instskip(NEXT) | instid1(VALU_DEP_2)
	v_dual_mul_f32 v21, 0x3f5ff5aa, v4 :: v_dual_add_f32 v16, v11, v5
	v_add_f32_e32 v2, v2, v5
	s_delay_alu instid0(VALU_DEP_2) | instskip(NEXT) | instid1(VALU_DEP_1)
	v_fma_f32 v14, 0xbeae86e6, v20, -v21
	v_dual_fmac_f32 v14, 0x3ee1c552, v6 :: v_dual_add_f32 v1, v52, v9
	v_fma_f32 v7, 0x3f3bfb3b, v7, -v13
	s_delay_alu instid0(VALU_DEP_2) | instskip(NEXT) | instid1(VALU_DEP_1)
	v_fmamk_f32 v4, v9, 0xbf955555, v1
	v_dual_add_f32 v6, v15, v4 :: v_dual_add_f32 v15, v18, v5
	v_add_f32_e32 v13, v8, v4
	s_delay_alu instid0(VALU_DEP_4) | instskip(SKIP_2) | instid1(VALU_DEP_4)
	v_add_f32_e32 v8, v7, v4
	v_sub_f32_e32 v4, v16, v14
	v_fmac_f32_e32 v22, 0x3ee1c552, v3
	v_dual_fmac_f32 v10, 0x3ee1c552, v3 :: v_dual_add_f32 v5, v12, v13
	v_dual_sub_f32 v11, v13, v12 :: v_dual_add_f32 v12, v23, v15
	s_delay_alu instid0(VALU_DEP_3) | instskip(NEXT) | instid1(VALU_DEP_3)
	v_sub_f32_e32 v13, v6, v22
	v_sub_f32_e32 v7, v8, v10
	v_add_f32_e32 v9, v10, v8
	v_add_f32_e32 v10, v14, v16
	v_sub_f32_e32 v8, v2, v19
	v_add_f32_e32 v3, v22, v6
	v_add_f32_e32 v6, v19, v2
	v_sub_f32_e32 v2, v15, v23
	ds_store_2addr_b64 v24, v[0:1], v[12:13] offset0:48 offset1:192
	ds_store_2addr_b64 v25, v[10:11], v[8:9] offset0:16 offset1:160
	;; [unrolled: 1-line block ×3, first 2 shown]
	ds_store_b64 v61, v[2:3] offset:7808
.LBB0_17:
	s_or_b32 exec_lo, exec_lo, s1
	s_waitcnt lgkmcnt(0)
	s_barrier
	buffer_gl0_inv
	ds_load_b64 v[2:3], v61
	v_sub_nc_u32_e32 v4, 0, v39
	s_add_u32 s1, s8, 0x1f70
	s_addc_u32 s4, s9, 0
	s_mov_b32 s5, exec_lo
                                        ; implicit-def: $vgpr0
                                        ; implicit-def: $vgpr11
                                        ; implicit-def: $vgpr12
	v_cmpx_ne_u32_e32 0, v38
	s_xor_b32 s5, exec_lo, s5
	s_cbranch_execz .LBB0_19
; %bb.18:
	v_mov_b32_e32 v39, 0
	s_delay_alu instid0(VALU_DEP_1) | instskip(NEXT) | instid1(VALU_DEP_1)
	v_lshlrev_b64 v[0:1], 3, v[38:39]
	v_add_co_u32 v0, s0, s1, v0
	s_delay_alu instid0(VALU_DEP_1)
	v_add_co_ci_u32_e64 v1, s0, s4, v1, s0
	global_load_b64 v[5:6], v[0:1], off
	ds_load_b64 v[0:1], v4 offset:8064
	s_waitcnt lgkmcnt(0)
	v_dual_add_f32 v8, v1, v3 :: v_dual_sub_f32 v7, v2, v0
	v_dual_add_f32 v0, v0, v2 :: v_dual_sub_f32 v1, v3, v1
	s_delay_alu instid0(VALU_DEP_2) | instskip(NEXT) | instid1(VALU_DEP_2)
	v_dual_mul_f32 v2, 0.5, v8 :: v_dual_mul_f32 v3, 0.5, v7
	v_mul_f32_e32 v1, 0.5, v1
	s_waitcnt vmcnt(0)
	s_delay_alu instid0(VALU_DEP_2) | instskip(NEXT) | instid1(VALU_DEP_2)
	v_mul_f32_e32 v7, v6, v3
	v_fma_f32 v8, v2, v6, v1
	v_fma_f32 v1, v2, v6, -v1
	s_delay_alu instid0(VALU_DEP_3) | instskip(SKIP_1) | instid1(VALU_DEP_4)
	v_fma_f32 v11, 0.5, v0, v7
	v_fma_f32 v0, v0, 0.5, -v7
	v_fma_f32 v12, -v5, v3, v8
	s_delay_alu instid0(VALU_DEP_4) | instskip(NEXT) | instid1(VALU_DEP_4)
	v_fma_f32 v1, -v5, v3, v1
	v_fmac_f32_e32 v11, v5, v2
	s_delay_alu instid0(VALU_DEP_4)
	v_fma_f32 v0, -v5, v2, v0
                                        ; implicit-def: $vgpr2_vgpr3
.LBB0_19:
	s_or_saveexec_b32 s0, s5
	v_sub_nc_u32_e32 v10, 0, v41
	v_sub_nc_u32_e32 v9, 0, v67
	;; [unrolled: 1-line block ×6, first 2 shown]
	s_xor_b32 exec_lo, exec_lo, s0
	s_cbranch_execz .LBB0_21
; %bb.20:
	s_waitcnt lgkmcnt(0)
	v_dual_mov_b32 v12, 0 :: v_dual_add_f32 v11, v2, v3
	v_sub_f32_e32 v0, v2, v3
	ds_load_b32 v1, v12 offset:4036
	s_waitcnt lgkmcnt(0)
	v_xor_b32_e32 v2, 0x80000000, v1
	v_mov_b32_e32 v1, 0
	ds_store_b32 v12, v2 offset:4036
.LBB0_21:
	s_or_b32 exec_lo, exec_lo, s0
	v_mov_b32_e32 v41, 0
	s_waitcnt lgkmcnt(0)
	s_delay_alu instid0(VALU_DEP_1) | instskip(SKIP_1) | instid1(VALU_DEP_1)
	v_lshlrev_b64 v[2:3], 3, v[40:41]
	v_mov_b32_e32 v51, v41
	v_lshlrev_b64 v[13:14], 3, v[50:51]
	s_delay_alu instid0(VALU_DEP_3) | instskip(NEXT) | instid1(VALU_DEP_1)
	v_add_co_u32 v2, s0, s1, v2
	v_add_co_ci_u32_e64 v3, s0, s4, v3, s0
	v_mov_b32_e32 v50, v41
	s_delay_alu instid0(VALU_DEP_4)
	v_add_co_u32 v13, s0, s1, v13
	global_load_b64 v[2:3], v[2:3], off
	v_add_co_ci_u32_e64 v14, s0, s4, v14, s0
	v_lshlrev_b64 v[15:16], 3, v[49:50]
	v_mov_b32_e32 v49, v41
	global_load_b64 v[13:14], v[13:14], off
	v_add_co_u32 v15, s0, s1, v15
	s_delay_alu instid0(VALU_DEP_1) | instskip(SKIP_4) | instid1(VALU_DEP_1)
	v_add_co_ci_u32_e64 v16, s0, s4, v16, s0
	v_lshlrev_b64 v[17:18], 3, v[48:49]
	v_mov_b32_e32 v48, v41
	global_load_b64 v[15:16], v[15:16], off
	v_add_co_u32 v17, s0, s1, v17
	v_add_co_ci_u32_e64 v18, s0, s4, v18, s0
	v_lshlrev_b64 v[19:20], 3, v[47:48]
	global_load_b64 v[17:18], v[17:18], off
	v_mov_b32_e32 v47, v41
	v_add_co_u32 v19, s0, s1, v19
	s_delay_alu instid0(VALU_DEP_1) | instskip(NEXT) | instid1(VALU_DEP_3)
	v_add_co_ci_u32_e64 v20, s0, s4, v20, s0
	v_lshlrev_b64 v[21:22], 3, v[46:47]
	global_load_b64 v[19:20], v[19:20], off
	v_add_co_u32 v21, s0, s1, v21
	s_delay_alu instid0(VALU_DEP_1)
	v_add_co_ci_u32_e64 v22, s0, s4, v22, s0
	global_load_b64 v[21:22], v[21:22], off
	ds_store_2addr_b32 v61, v11, v12 offset1:1
	ds_store_b64 v4, v[0:1] offset:8064
	ds_load_b64 v[0:1], v66
	ds_load_b64 v[11:12], v4 offset:7616
	s_waitcnt lgkmcnt(0)
	v_add_f32_e32 v26, v1, v12
	v_dual_mov_b32 v46, v41 :: v_dual_sub_f32 v25, v0, v11
	v_add_f32_e32 v11, v0, v11
	v_sub_f32_e32 v1, v1, v12
	s_delay_alu instid0(VALU_DEP_3) | instskip(NEXT) | instid1(VALU_DEP_4)
	v_lshlrev_b64 v[23:24], 3, v[45:46]
	v_dual_mov_b32 v45, v41 :: v_dual_mul_f32 v12, 0.5, v25
	s_delay_alu instid0(VALU_DEP_3) | instskip(NEXT) | instid1(VALU_DEP_3)
	v_dual_mul_f32 v25, 0.5, v26 :: v_dual_mul_f32 v26, 0.5, v1
	v_add_co_u32 v23, s0, s1, v23
	s_delay_alu instid0(VALU_DEP_1) | instskip(NEXT) | instid1(VALU_DEP_4)
	v_add_co_ci_u32_e64 v24, s0, s4, v24, s0
	v_lshlrev_b64 v[0:1], 3, v[44:45]
	global_load_b64 v[23:24], v[23:24], off
	v_add_co_u32 v0, s0, s1, v0
	s_delay_alu instid0(VALU_DEP_1)
	v_add_co_ci_u32_e64 v1, s0, s4, v1, s0
	global_load_b64 v[0:1], v[0:1], off
	s_waitcnt vmcnt(7)
	v_mul_f32_e32 v27, v3, v12
	v_fma_f32 v28, v25, v3, v26
	v_fma_f32 v3, v25, v3, -v26
	s_delay_alu instid0(VALU_DEP_3) | instskip(SKIP_1) | instid1(VALU_DEP_4)
	v_fma_f32 v26, 0.5, v11, v27
	v_fma_f32 v11, v11, 0.5, -v27
	v_fma_f32 v27, -v2, v12, v28
	s_delay_alu instid0(VALU_DEP_4) | instskip(NEXT) | instid1(VALU_DEP_4)
	v_fma_f32 v3, -v2, v12, v3
	v_fmac_f32_e32 v26, v2, v25
	s_delay_alu instid0(VALU_DEP_4)
	v_fma_f32 v2, -v2, v25, v11
	ds_store_2addr_b32 v66, v26, v27 offset1:1
	ds_store_b64 v4, v[2:3] offset:7616
	ds_load_b64 v[2:3], v75
	ds_load_b64 v[11:12], v4 offset:7168
	s_waitcnt lgkmcnt(0)
	v_dual_sub_f32 v25, v2, v11 :: v_dual_add_f32 v26, v3, v12
	v_dual_sub_f32 v3, v3, v12 :: v_dual_add_f32 v2, v2, v11
	s_delay_alu instid0(VALU_DEP_2) | instskip(NEXT) | instid1(VALU_DEP_2)
	v_dual_mul_f32 v12, 0.5, v25 :: v_dual_mul_f32 v25, 0.5, v26
	v_mul_f32_e32 v3, 0.5, v3
	s_waitcnt vmcnt(6)
	s_delay_alu instid0(VALU_DEP_2) | instskip(NEXT) | instid1(VALU_DEP_2)
	v_mul_f32_e32 v11, v14, v12
	v_fma_f32 v26, v25, v14, v3
	v_fma_f32 v3, v25, v14, -v3
	s_delay_alu instid0(VALU_DEP_3) | instskip(SKIP_1) | instid1(VALU_DEP_4)
	v_fma_f32 v14, 0.5, v2, v11
	v_fma_f32 v2, v2, 0.5, -v11
	v_fma_f32 v11, -v13, v12, v26
	s_delay_alu instid0(VALU_DEP_4)
	v_fma_f32 v3, -v13, v12, v3
	v_add_nc_u32_e32 v12, v65, v10
	v_fmac_f32_e32 v14, v13, v25
	v_fma_f32 v2, -v13, v25, v2
	ds_store_b32 v75, v11 offset:4
	ds_store_b32 v4, v3 offset:7172
	ds_store_b32 v75, v14
	ds_store_b32 v4, v2 offset:7168
	ds_load_b64 v[2:3], v12
	ds_load_b64 v[10:11], v4 offset:6720
	s_waitcnt lgkmcnt(0)
	v_dual_sub_f32 v13, v2, v10 :: v_dual_add_f32 v14, v3, v11
	v_dual_sub_f32 v3, v3, v11 :: v_dual_add_f32 v2, v2, v10
	s_delay_alu instid0(VALU_DEP_2) | instskip(NEXT) | instid1(VALU_DEP_3)
	v_mul_f32_e32 v11, 0.5, v13
	v_mul_f32_e32 v13, 0.5, v14
	s_delay_alu instid0(VALU_DEP_3) | instskip(SKIP_1) | instid1(VALU_DEP_3)
	v_mul_f32_e32 v3, 0.5, v3
	s_waitcnt vmcnt(5)
	v_mul_f32_e32 v10, v16, v11
	s_delay_alu instid0(VALU_DEP_2) | instskip(SKIP_1) | instid1(VALU_DEP_3)
	v_fma_f32 v14, v13, v16, v3
	v_fma_f32 v3, v13, v16, -v3
	v_fma_f32 v16, 0.5, v2, v10
	v_fma_f32 v2, v2, 0.5, -v10
	s_delay_alu instid0(VALU_DEP_4) | instskip(NEXT) | instid1(VALU_DEP_4)
	v_fma_f32 v10, -v15, v11, v14
	v_fma_f32 v3, -v15, v11, v3
	v_add_nc_u32_e32 v11, v64, v9
	v_fmac_f32_e32 v16, v15, v13
	v_fma_f32 v2, -v15, v13, v2
	ds_store_b32 v12, v10 offset:4
	ds_store_b32 v4, v3 offset:6724
	ds_store_b32 v12, v16
	ds_store_b32 v4, v2 offset:6720
	ds_load_b64 v[2:3], v11
	ds_load_b64 v[9:10], v4 offset:6272
	s_waitcnt lgkmcnt(0)
	v_dual_sub_f32 v12, v2, v9 :: v_dual_add_f32 v13, v3, v10
	v_dual_sub_f32 v3, v3, v10 :: v_dual_add_f32 v2, v2, v9
	s_delay_alu instid0(VALU_DEP_2) | instskip(NEXT) | instid1(VALU_DEP_2)
	v_mul_f32_e32 v10, 0.5, v12
	v_dual_mul_f32 v12, 0.5, v13 :: v_dual_mul_f32 v3, 0.5, v3
	s_waitcnt vmcnt(4)
	s_delay_alu instid0(VALU_DEP_2) | instskip(NEXT) | instid1(VALU_DEP_2)
	v_mul_f32_e32 v9, v18, v10
	v_fma_f32 v13, v12, v18, v3
	v_fma_f32 v3, v12, v18, -v3
	s_delay_alu instid0(VALU_DEP_3) | instskip(SKIP_1) | instid1(VALU_DEP_4)
	v_fma_f32 v14, 0.5, v2, v9
	v_fma_f32 v2, v2, 0.5, -v9
	v_fma_f32 v9, -v17, v10, v13
	s_delay_alu instid0(VALU_DEP_4)
	v_fma_f32 v3, -v17, v10, v3
	v_add_nc_u32_e32 v10, v62, v8
	v_fmac_f32_e32 v14, v17, v12
	v_fma_f32 v2, -v17, v12, v2
	ds_store_b32 v11, v9 offset:4
	ds_store_b32 v4, v3 offset:6276
	ds_store_b32 v11, v14
	ds_store_b32 v4, v2 offset:6272
	ds_load_b64 v[2:3], v10
	ds_load_b64 v[8:9], v4 offset:5824
	s_waitcnt lgkmcnt(0)
	v_dual_sub_f32 v11, v2, v8 :: v_dual_add_f32 v12, v3, v9
	v_dual_sub_f32 v3, v3, v9 :: v_dual_add_f32 v2, v2, v8
	s_delay_alu instid0(VALU_DEP_2) | instskip(NEXT) | instid1(VALU_DEP_3)
	v_mul_f32_e32 v9, 0.5, v11
	v_mul_f32_e32 v11, 0.5, v12
	s_waitcnt vmcnt(3)
	s_delay_alu instid0(VALU_DEP_2) | instskip(NEXT) | instid1(VALU_DEP_1)
	v_dual_mul_f32 v3, 0.5, v3 :: v_dual_mul_f32 v8, v20, v9
	v_fma_f32 v12, v11, v20, v3
	v_fma_f32 v3, v11, v20, -v3
	s_delay_alu instid0(VALU_DEP_3) | instskip(SKIP_1) | instid1(VALU_DEP_4)
	v_fma_f32 v13, 0.5, v2, v8
	v_fma_f32 v2, v2, 0.5, -v8
	v_fma_f32 v8, -v19, v9, v12
	s_delay_alu instid0(VALU_DEP_4)
	v_fma_f32 v3, -v19, v9, v3
	v_add_nc_u32_e32 v9, v60, v7
	v_fmac_f32_e32 v13, v19, v11
	v_fma_f32 v2, -v19, v11, v2
	ds_store_b32 v10, v8 offset:4
	ds_store_b32 v4, v3 offset:5828
	ds_store_b32 v10, v13
	ds_store_b32 v4, v2 offset:5824
	ds_load_b64 v[2:3], v9
	ds_load_b64 v[7:8], v4 offset:5376
	s_waitcnt lgkmcnt(0)
	v_dual_sub_f32 v10, v2, v7 :: v_dual_add_f32 v11, v3, v8
	v_dual_sub_f32 v3, v3, v8 :: v_dual_add_f32 v2, v2, v7
	s_delay_alu instid0(VALU_DEP_2) | instskip(NEXT) | instid1(VALU_DEP_3)
	v_mul_f32_e32 v8, 0.5, v10
	v_mul_f32_e32 v10, 0.5, v11
	s_delay_alu instid0(VALU_DEP_3) | instskip(SKIP_1) | instid1(VALU_DEP_3)
	v_mul_f32_e32 v3, 0.5, v3
	s_waitcnt vmcnt(2)
	v_mul_f32_e32 v7, v22, v8
	s_delay_alu instid0(VALU_DEP_2) | instskip(SKIP_1) | instid1(VALU_DEP_3)
	v_fma_f32 v11, v10, v22, v3
	v_fma_f32 v3, v10, v22, -v3
	v_fma_f32 v12, 0.5, v2, v7
	v_fma_f32 v2, v2, 0.5, -v7
	s_delay_alu instid0(VALU_DEP_4) | instskip(NEXT) | instid1(VALU_DEP_4)
	v_fma_f32 v7, -v21, v8, v11
	v_fma_f32 v3, -v21, v8, v3
	v_add_nc_u32_e32 v8, v59, v6
	v_fmac_f32_e32 v12, v21, v10
	v_fma_f32 v2, -v21, v10, v2
	ds_store_b32 v9, v7 offset:4
	ds_store_b32 v4, v3 offset:5380
	ds_store_b32 v9, v12
	ds_store_b32 v4, v2 offset:5376
	ds_load_b64 v[2:3], v8
	ds_load_b64 v[6:7], v4 offset:4928
	s_waitcnt lgkmcnt(0)
	v_dual_sub_f32 v9, v2, v6 :: v_dual_add_f32 v10, v3, v7
	v_dual_sub_f32 v3, v3, v7 :: v_dual_add_f32 v2, v2, v6
	s_delay_alu instid0(VALU_DEP_2) | instskip(NEXT) | instid1(VALU_DEP_3)
	v_mul_f32_e32 v7, 0.5, v9
	v_mul_f32_e32 v9, 0.5, v10
	s_delay_alu instid0(VALU_DEP_3) | instskip(SKIP_1) | instid1(VALU_DEP_3)
	v_mul_f32_e32 v3, 0.5, v3
	s_waitcnt vmcnt(1)
	v_mul_f32_e32 v6, v24, v7
	s_delay_alu instid0(VALU_DEP_2) | instskip(SKIP_1) | instid1(VALU_DEP_3)
	v_fma_f32 v10, v9, v24, v3
	v_fma_f32 v3, v9, v24, -v3
	v_fma_f32 v11, 0.5, v2, v6
	v_fma_f32 v2, v2, 0.5, -v6
	s_delay_alu instid0(VALU_DEP_4) | instskip(NEXT) | instid1(VALU_DEP_4)
	v_fma_f32 v6, -v23, v7, v10
	v_fma_f32 v3, -v23, v7, v3
	v_add_nc_u32_e32 v7, v63, v5
	v_fmac_f32_e32 v11, v23, v9
	v_fma_f32 v2, -v23, v9, v2
	ds_store_b32 v8, v6 offset:4
	ds_store_b32 v4, v3 offset:4932
	ds_store_b32 v8, v11
	ds_store_b32 v4, v2 offset:4928
	ds_load_b64 v[2:3], v7
	ds_load_b64 v[5:6], v4 offset:4480
	s_waitcnt lgkmcnt(0)
	v_sub_f32_e32 v8, v2, v5
	v_dual_add_f32 v2, v2, v5 :: v_dual_add_f32 v9, v3, v6
	s_delay_alu instid0(VALU_DEP_2) | instskip(NEXT) | instid1(VALU_DEP_1)
	v_dual_sub_f32 v3, v3, v6 :: v_dual_mul_f32 v6, 0.5, v8
	v_dual_mul_f32 v8, 0.5, v9 :: v_dual_mul_f32 v3, 0.5, v3
	s_waitcnt vmcnt(0)
	s_delay_alu instid0(VALU_DEP_2) | instskip(NEXT) | instid1(VALU_DEP_2)
	v_mul_f32_e32 v5, v1, v6
	v_fma_f32 v9, v8, v1, v3
	v_fma_f32 v1, v8, v1, -v3
	s_delay_alu instid0(VALU_DEP_3) | instskip(SKIP_1) | instid1(VALU_DEP_4)
	v_fma_f32 v3, 0.5, v2, v5
	v_fma_f32 v2, v2, 0.5, -v5
	v_fma_f32 v5, -v0, v6, v9
	s_delay_alu instid0(VALU_DEP_4) | instskip(NEXT) | instid1(VALU_DEP_4)
	v_fma_f32 v1, -v0, v6, v1
	v_fmac_f32_e32 v3, v0, v8
	s_delay_alu instid0(VALU_DEP_4)
	v_fma_f32 v0, -v0, v8, v2
	ds_store_b32 v7, v5 offset:4
	ds_store_b32 v4, v1 offset:4484
	ds_store_b32 v7, v3
	ds_store_b32 v4, v0 offset:4480
	s_waitcnt lgkmcnt(0)
	s_barrier
	buffer_gl0_inv
	s_and_saveexec_b32 s0, vcc_lo
	s_cbranch_execz .LBB0_24
; %bb.22:
	v_mul_lo_u32 v2, s3, v42
	v_mul_lo_u32 v3, s2, v43
	v_mad_u64_u32 v[0:1], null, s2, v42, 0
	v_dual_mov_b32 v39, v41 :: v_dual_add_nc_u32 v40, 56, v38
	v_lshlrev_b64 v[10:11], 3, v[36:37]
	v_lshl_add_u32 v20, v38, 3, 0
	s_delay_alu instid0(VALU_DEP_3)
	v_lshlrev_b64 v[12:13], 3, v[38:39]
	v_add3_u32 v1, v1, v3, v2
	v_lshlrev_b64 v[14:15], 3, v[40:41]
	ds_load_2addr_b64 v[2:5], v20 offset1:56
	v_add_nc_u32_e32 v40, 0x70, v38
	ds_load_2addr_b64 v[6:9], v20 offset0:112 offset1:168
	v_lshlrev_b64 v[0:1], 3, v[0:1]
	v_add_nc_u32_e32 v21, 0x400, v20
	v_lshlrev_b64 v[16:17], 3, v[40:41]
	v_add_nc_u32_e32 v40, 0xa8, v38
	s_delay_alu instid0(VALU_DEP_4) | instskip(SKIP_1) | instid1(VALU_DEP_2)
	v_add_co_u32 v0, vcc_lo, s6, v0
	v_add_co_ci_u32_e32 v1, vcc_lo, s7, v1, vcc_lo
	v_add_co_u32 v0, vcc_lo, v0, v10
	s_delay_alu instid0(VALU_DEP_2) | instskip(NEXT) | instid1(VALU_DEP_2)
	v_add_co_ci_u32_e32 v1, vcc_lo, v1, v11, vcc_lo
	v_add_co_u32 v10, vcc_lo, v0, v12
	s_delay_alu instid0(VALU_DEP_2)
	v_add_co_ci_u32_e32 v11, vcc_lo, v1, v13, vcc_lo
	v_add_co_u32 v12, vcc_lo, v0, v14
	v_add_co_ci_u32_e32 v13, vcc_lo, v1, v15, vcc_lo
	v_lshlrev_b64 v[14:15], 3, v[40:41]
	v_add_co_u32 v16, vcc_lo, v0, v16
	v_add_nc_u32_e32 v40, 0xe0, v38
	v_add_co_ci_u32_e32 v17, vcc_lo, v1, v17, vcc_lo
	s_delay_alu instid0(VALU_DEP_4) | instskip(SKIP_1) | instid1(VALU_DEP_4)
	v_add_co_u32 v14, vcc_lo, v0, v14
	v_add_co_ci_u32_e32 v15, vcc_lo, v1, v15, vcc_lo
	v_lshlrev_b64 v[18:19], 3, v[40:41]
	v_add_nc_u32_e32 v40, 0x118, v38
	s_waitcnt lgkmcnt(1)
	s_clause 0x1
	global_store_b64 v[10:11], v[2:3], off
	global_store_b64 v[12:13], v[4:5], off
	s_waitcnt lgkmcnt(0)
	s_clause 0x1
	global_store_b64 v[16:17], v[6:7], off
	global_store_b64 v[14:15], v[8:9], off
	ds_load_2addr_b64 v[2:5], v21 offset0:96 offset1:152
	v_add_nc_u32_e32 v21, 0x800, v20
	v_lshlrev_b64 v[10:11], 3, v[40:41]
	v_add_nc_u32_e32 v40, 0x150, v38
	v_add_co_u32 v12, vcc_lo, v0, v18
	ds_load_2addr_b64 v[6:9], v21 offset0:80 offset1:136
	v_add_co_ci_u32_e32 v13, vcc_lo, v1, v19, vcc_lo
	v_lshlrev_b64 v[14:15], 3, v[40:41]
	v_add_nc_u32_e32 v40, 0x188, v38
	v_add_co_u32 v10, vcc_lo, v0, v10
	v_add_co_ci_u32_e32 v11, vcc_lo, v1, v11, vcc_lo
	s_delay_alu instid0(VALU_DEP_3) | instskip(SKIP_3) | instid1(VALU_DEP_4)
	v_lshlrev_b64 v[16:17], 3, v[40:41]
	v_add_co_u32 v14, vcc_lo, v0, v14
	v_add_nc_u32_e32 v40, 0x1c0, v38
	v_add_co_ci_u32_e32 v15, vcc_lo, v1, v15, vcc_lo
	v_add_co_u32 v16, vcc_lo, v0, v16
	v_add_co_ci_u32_e32 v17, vcc_lo, v1, v17, vcc_lo
	s_delay_alu instid0(VALU_DEP_4)
	v_lshlrev_b64 v[18:19], 3, v[40:41]
	v_add_nc_u32_e32 v40, 0x1f8, v38
	s_waitcnt lgkmcnt(1)
	s_clause 0x1
	global_store_b64 v[12:13], v[2:3], off
	global_store_b64 v[10:11], v[4:5], off
	s_waitcnt lgkmcnt(0)
	s_clause 0x1
	global_store_b64 v[14:15], v[6:7], off
	global_store_b64 v[16:17], v[8:9], off
	ds_load_2addr_b64 v[2:5], v21 offset0:192 offset1:248
	v_add_nc_u32_e32 v21, 0x1000, v20
	v_lshlrev_b64 v[10:11], 3, v[40:41]
	v_add_nc_u32_e32 v40, 0x230, v38
	v_add_co_u32 v12, vcc_lo, v0, v18
	ds_load_2addr_b64 v[6:9], v21 offset0:48 offset1:104
	v_add_co_ci_u32_e32 v13, vcc_lo, v1, v19, vcc_lo
	v_lshlrev_b64 v[14:15], 3, v[40:41]
	v_add_nc_u32_e32 v40, 0x268, v38
	v_add_co_u32 v10, vcc_lo, v0, v10
	v_add_co_ci_u32_e32 v11, vcc_lo, v1, v11, vcc_lo
	s_delay_alu instid0(VALU_DEP_3) | instskip(SKIP_3) | instid1(VALU_DEP_3)
	v_lshlrev_b64 v[16:17], 3, v[40:41]
	v_add_nc_u32_e32 v40, 0x2a0, v38
	v_add_co_u32 v14, vcc_lo, v0, v14
	v_add_co_ci_u32_e32 v15, vcc_lo, v1, v15, vcc_lo
	v_lshlrev_b64 v[18:19], 3, v[40:41]
	v_add_nc_u32_e32 v40, 0x2d8, v38
	v_add_co_u32 v16, vcc_lo, v0, v16
	v_add_co_ci_u32_e32 v17, vcc_lo, v1, v17, vcc_lo
	s_waitcnt lgkmcnt(1)
	s_clause 0x1
	global_store_b64 v[12:13], v[2:3], off
	global_store_b64 v[10:11], v[4:5], off
	s_waitcnt lgkmcnt(0)
	s_clause 0x1
	global_store_b64 v[14:15], v[6:7], off
	global_store_b64 v[16:17], v[8:9], off
	v_lshlrev_b64 v[6:7], 3, v[40:41]
	v_add_nc_u32_e32 v40, 0x310, v38
	v_add_co_u32 v14, vcc_lo, v0, v18
	v_add_co_ci_u32_e32 v15, vcc_lo, v1, v19, vcc_lo
	s_delay_alu instid0(VALU_DEP_3)
	v_lshlrev_b64 v[10:11], 3, v[40:41]
	v_add_nc_u32_e32 v40, 0x348, v38
	v_add_nc_u32_e32 v12, 0x1800, v20
	v_add_co_u32 v16, vcc_lo, v0, v6
	ds_load_2addr_b64 v[2:5], v21 offset0:160 offset1:216
	v_lshlrev_b64 v[18:19], 3, v[40:41]
	v_add_nc_u32_e32 v40, 0x380, v38
	v_add_co_ci_u32_e32 v17, vcc_lo, v1, v7, vcc_lo
	ds_load_2addr_b64 v[6:9], v12 offset0:16 offset1:72
	v_add_co_u32 v20, vcc_lo, v0, v10
	v_lshlrev_b64 v[22:23], 3, v[40:41]
	v_add_nc_u32_e32 v40, 0x3b8, v38
	v_add_co_ci_u32_e32 v21, vcc_lo, v1, v11, vcc_lo
	ds_load_2addr_b64 v[10:13], v12 offset0:128 offset1:184
	v_add_co_u32 v18, vcc_lo, v0, v18
	v_lshlrev_b64 v[24:25], 3, v[40:41]
	v_add_co_ci_u32_e32 v19, vcc_lo, v1, v19, vcc_lo
	v_add_co_u32 v22, vcc_lo, v0, v22
	v_add_co_ci_u32_e32 v23, vcc_lo, v1, v23, vcc_lo
	s_delay_alu instid0(VALU_DEP_4)
	v_add_co_u32 v24, vcc_lo, v0, v24
	v_add_co_ci_u32_e32 v25, vcc_lo, v1, v25, vcc_lo
	v_cmp_eq_u32_e32 vcc_lo, 55, v38
	s_waitcnt lgkmcnt(2)
	s_clause 0x1
	global_store_b64 v[14:15], v[2:3], off
	global_store_b64 v[16:17], v[4:5], off
	s_waitcnt lgkmcnt(1)
	s_clause 0x1
	global_store_b64 v[20:21], v[6:7], off
	global_store_b64 v[18:19], v[8:9], off
	;; [unrolled: 4-line block ×3, first 2 shown]
	s_and_b32 exec_lo, exec_lo, vcc_lo
	s_cbranch_execz .LBB0_24
; %bb.23:
	v_mov_b32_e32 v2, 0
	v_add_co_u32 v0, vcc_lo, 0x1000, v0
	v_add_co_ci_u32_e32 v1, vcc_lo, 0, v1, vcc_lo
	ds_load_b64 v[2:3], v2 offset:8064
	s_waitcnt lgkmcnt(0)
	global_store_b64 v[0:1], v[2:3], off offset:3968
.LBB0_24:
	s_nop 0
	s_sendmsg sendmsg(MSG_DEALLOC_VGPRS)
	s_endpgm
	.section	.rodata,"a",@progbits
	.p2align	6, 0x0
	.amdhsa_kernel fft_rtc_fwd_len1008_factors_2_2_2_2_3_3_7_wgs_56_tpt_56_halfLds_sp_op_CI_CI_unitstride_sbrr_R2C_dirReg
		.amdhsa_group_segment_fixed_size 0
		.amdhsa_private_segment_fixed_size 0
		.amdhsa_kernarg_size 104
		.amdhsa_user_sgpr_count 15
		.amdhsa_user_sgpr_dispatch_ptr 0
		.amdhsa_user_sgpr_queue_ptr 0
		.amdhsa_user_sgpr_kernarg_segment_ptr 1
		.amdhsa_user_sgpr_dispatch_id 0
		.amdhsa_user_sgpr_private_segment_size 0
		.amdhsa_wavefront_size32 1
		.amdhsa_uses_dynamic_stack 0
		.amdhsa_enable_private_segment 0
		.amdhsa_system_sgpr_workgroup_id_x 1
		.amdhsa_system_sgpr_workgroup_id_y 0
		.amdhsa_system_sgpr_workgroup_id_z 0
		.amdhsa_system_sgpr_workgroup_info 0
		.amdhsa_system_vgpr_workitem_id 0
		.amdhsa_next_free_vgpr 115
		.amdhsa_next_free_sgpr 27
		.amdhsa_reserve_vcc 1
		.amdhsa_float_round_mode_32 0
		.amdhsa_float_round_mode_16_64 0
		.amdhsa_float_denorm_mode_32 3
		.amdhsa_float_denorm_mode_16_64 3
		.amdhsa_dx10_clamp 1
		.amdhsa_ieee_mode 1
		.amdhsa_fp16_overflow 0
		.amdhsa_workgroup_processor_mode 1
		.amdhsa_memory_ordered 1
		.amdhsa_forward_progress 0
		.amdhsa_shared_vgpr_count 0
		.amdhsa_exception_fp_ieee_invalid_op 0
		.amdhsa_exception_fp_denorm_src 0
		.amdhsa_exception_fp_ieee_div_zero 0
		.amdhsa_exception_fp_ieee_overflow 0
		.amdhsa_exception_fp_ieee_underflow 0
		.amdhsa_exception_fp_ieee_inexact 0
		.amdhsa_exception_int_div_zero 0
	.end_amdhsa_kernel
	.text
.Lfunc_end0:
	.size	fft_rtc_fwd_len1008_factors_2_2_2_2_3_3_7_wgs_56_tpt_56_halfLds_sp_op_CI_CI_unitstride_sbrr_R2C_dirReg, .Lfunc_end0-fft_rtc_fwd_len1008_factors_2_2_2_2_3_3_7_wgs_56_tpt_56_halfLds_sp_op_CI_CI_unitstride_sbrr_R2C_dirReg
                                        ; -- End function
	.section	.AMDGPU.csdata,"",@progbits
; Kernel info:
; codeLenInByte = 13092
; NumSgprs: 29
; NumVgprs: 115
; ScratchSize: 0
; MemoryBound: 0
; FloatMode: 240
; IeeeMode: 1
; LDSByteSize: 0 bytes/workgroup (compile time only)
; SGPRBlocks: 3
; VGPRBlocks: 14
; NumSGPRsForWavesPerEU: 29
; NumVGPRsForWavesPerEU: 115
; Occupancy: 12
; WaveLimiterHint : 1
; COMPUTE_PGM_RSRC2:SCRATCH_EN: 0
; COMPUTE_PGM_RSRC2:USER_SGPR: 15
; COMPUTE_PGM_RSRC2:TRAP_HANDLER: 0
; COMPUTE_PGM_RSRC2:TGID_X_EN: 1
; COMPUTE_PGM_RSRC2:TGID_Y_EN: 0
; COMPUTE_PGM_RSRC2:TGID_Z_EN: 0
; COMPUTE_PGM_RSRC2:TIDIG_COMP_CNT: 0
	.text
	.p2alignl 7, 3214868480
	.fill 96, 4, 3214868480
	.type	__hip_cuid_ad9d1b25089e2e0a,@object ; @__hip_cuid_ad9d1b25089e2e0a
	.section	.bss,"aw",@nobits
	.globl	__hip_cuid_ad9d1b25089e2e0a
__hip_cuid_ad9d1b25089e2e0a:
	.byte	0                               ; 0x0
	.size	__hip_cuid_ad9d1b25089e2e0a, 1

	.ident	"AMD clang version 19.0.0git (https://github.com/RadeonOpenCompute/llvm-project roc-6.4.0 25133 c7fe45cf4b819c5991fe208aaa96edf142730f1d)"
	.section	".note.GNU-stack","",@progbits
	.addrsig
	.addrsig_sym __hip_cuid_ad9d1b25089e2e0a
	.amdgpu_metadata
---
amdhsa.kernels:
  - .args:
      - .actual_access:  read_only
        .address_space:  global
        .offset:         0
        .size:           8
        .value_kind:     global_buffer
      - .offset:         8
        .size:           8
        .value_kind:     by_value
      - .actual_access:  read_only
        .address_space:  global
        .offset:         16
        .size:           8
        .value_kind:     global_buffer
      - .actual_access:  read_only
        .address_space:  global
        .offset:         24
        .size:           8
        .value_kind:     global_buffer
      - .actual_access:  read_only
        .address_space:  global
        .offset:         32
        .size:           8
        .value_kind:     global_buffer
      - .offset:         40
        .size:           8
        .value_kind:     by_value
      - .actual_access:  read_only
        .address_space:  global
        .offset:         48
        .size:           8
        .value_kind:     global_buffer
      - .actual_access:  read_only
        .address_space:  global
        .offset:         56
        .size:           8
        .value_kind:     global_buffer
      - .offset:         64
        .size:           4
        .value_kind:     by_value
      - .actual_access:  read_only
        .address_space:  global
        .offset:         72
        .size:           8
        .value_kind:     global_buffer
      - .actual_access:  read_only
        .address_space:  global
        .offset:         80
        .size:           8
        .value_kind:     global_buffer
      - .actual_access:  read_only
        .address_space:  global
        .offset:         88
        .size:           8
        .value_kind:     global_buffer
      - .actual_access:  write_only
        .address_space:  global
        .offset:         96
        .size:           8
        .value_kind:     global_buffer
    .group_segment_fixed_size: 0
    .kernarg_segment_align: 8
    .kernarg_segment_size: 104
    .language:       OpenCL C
    .language_version:
      - 2
      - 0
    .max_flat_workgroup_size: 56
    .name:           fft_rtc_fwd_len1008_factors_2_2_2_2_3_3_7_wgs_56_tpt_56_halfLds_sp_op_CI_CI_unitstride_sbrr_R2C_dirReg
    .private_segment_fixed_size: 0
    .sgpr_count:     29
    .sgpr_spill_count: 0
    .symbol:         fft_rtc_fwd_len1008_factors_2_2_2_2_3_3_7_wgs_56_tpt_56_halfLds_sp_op_CI_CI_unitstride_sbrr_R2C_dirReg.kd
    .uniform_work_group_size: 1
    .uses_dynamic_stack: false
    .vgpr_count:     115
    .vgpr_spill_count: 0
    .wavefront_size: 32
    .workgroup_processor_mode: 1
amdhsa.target:   amdgcn-amd-amdhsa--gfx1100
amdhsa.version:
  - 1
  - 2
...

	.end_amdgpu_metadata
